;; amdgpu-corpus repo=ROCm/rocFFT kind=compiled arch=gfx906 opt=O3
	.text
	.amdgcn_target "amdgcn-amd-amdhsa--gfx906"
	.amdhsa_code_object_version 6
	.protected	bluestein_single_fwd_len882_dim1_dp_op_CI_CI ; -- Begin function bluestein_single_fwd_len882_dim1_dp_op_CI_CI
	.globl	bluestein_single_fwd_len882_dim1_dp_op_CI_CI
	.p2align	8
	.type	bluestein_single_fwd_len882_dim1_dp_op_CI_CI,@function
bluestein_single_fwd_len882_dim1_dp_op_CI_CI: ; @bluestein_single_fwd_len882_dim1_dp_op_CI_CI
; %bb.0:
	s_load_dwordx4 s[8:11], s[4:5], 0x28
	v_mul_u32_u24_e32 v1, 0x411, v0
	v_add_u32_sdwa v210, s6, v1 dst_sel:DWORD dst_unused:UNUSED_PAD src0_sel:DWORD src1_sel:WORD_1
	v_mov_b32_e32 v211, 0
	s_waitcnt lgkmcnt(0)
	v_cmp_gt_u64_e32 vcc, s[8:9], v[210:211]
	s_and_saveexec_b64 s[0:1], vcc
	s_cbranch_execz .LBB0_15
; %bb.1:
	s_load_dwordx4 s[0:3], s[4:5], 0x18
	v_mov_b32_e32 v2, 63
	v_mul_lo_u16_sdwa v1, v1, v2 dst_sel:DWORD dst_unused:UNUSED_PAD src0_sel:WORD_1 src1_sel:DWORD
	v_sub_u16_e32 v212, v0, v1
	v_lshlrev_b32_e32 v211, 4, v212
	s_waitcnt lgkmcnt(0)
	s_load_dwordx4 s[12:15], s[0:1], 0x0
	s_waitcnt lgkmcnt(0)
	v_mad_u64_u32 v[0:1], s[0:1], s14, v210, 0
	v_mad_u64_u32 v[2:3], s[0:1], s12, v212, 0
	s_mul_i32 s6, s13, 0x62
	s_mul_hi_u32 s7, s12, 0x62
	v_mad_u64_u32 v[4:5], s[0:1], s15, v210, v[1:2]
	s_load_dwordx2 s[14:15], s[4:5], 0x0
	s_add_i32 s7, s7, s6
	v_mad_u64_u32 v[5:6], s[0:1], s13, v212, v[3:4]
	v_mov_b32_e32 v1, v4
	v_lshlrev_b64 v[0:1], 4, v[0:1]
	v_mov_b32_e32 v6, s11
	v_mov_b32_e32 v3, v5
	v_add_co_u32_e32 v4, vcc, s10, v0
	v_addc_co_u32_e32 v5, vcc, v6, v1, vcc
	v_lshlrev_b64 v[0:1], 4, v[2:3]
	s_waitcnt lgkmcnt(0)
	v_mov_b32_e32 v2, s15
	v_add_co_u32_e32 v0, vcc, v4, v0
	v_add_co_u32_e64 v208, s[0:1], s14, v211
	s_mul_i32 s6, s12, 0x62
	v_addc_co_u32_e32 v1, vcc, v5, v1, vcc
	v_addc_co_u32_e64 v209, vcc, 0, v2, s[0:1]
	s_lshl_b64 s[16:17], s[6:7], 4
	v_mov_b32_e32 v22, s17
	v_add_co_u32_e32 v2, vcc, s16, v0
	v_addc_co_u32_e32 v3, vcc, v1, v22, vcc
	global_load_dwordx4 v[44:47], v[0:1], off
	global_load_dwordx4 v[48:51], v[2:3], off
	global_load_dwordx4 v[32:35], v211, s[14:15]
	global_load_dwordx4 v[24:27], v211, s[14:15] offset:1568
	v_add_co_u32_e32 v0, vcc, s16, v2
	v_addc_co_u32_e32 v1, vcc, v3, v22, vcc
	v_add_co_u32_e32 v2, vcc, s16, v0
	v_addc_co_u32_e32 v3, vcc, v1, v22, vcc
	s_movk_i32 s6, 0x1000
	v_add_co_u32_e32 v36, vcc, s6, v208
	v_addc_co_u32_e32 v37, vcc, 0, v209, vcc
	global_load_dwordx4 v[4:7], v211, s[14:15] offset:3136
	global_load_dwordx4 v[52:55], v[0:1], off
	global_load_dwordx4 v[56:59], v[2:3], off
	v_add_co_u32_e32 v0, vcc, s16, v2
	v_addc_co_u32_e32 v1, vcc, v3, v22, vcc
	global_load_dwordx4 v[60:63], v[0:1], off
	global_load_dwordx4 v[28:31], v[36:37], off offset:608
	global_load_dwordx4 v[12:15], v[36:37], off offset:2176
	v_add_co_u32_e32 v0, vcc, s16, v0
	v_addc_co_u32_e32 v1, vcc, v1, v22, vcc
	global_load_dwordx4 v[64:67], v[0:1], off
	global_load_dwordx4 v[8:11], v[36:37], off offset:3744
	v_add_co_u32_e32 v0, vcc, s16, v0
	v_addc_co_u32_e32 v1, vcc, v1, v22, vcc
	s_movk_i32 s6, 0x2000
	v_add_co_u32_e32 v38, vcc, s6, v208
	v_addc_co_u32_e32 v39, vcc, 0, v209, vcc
	v_add_co_u32_e32 v20, vcc, s16, v0
	v_addc_co_u32_e32 v21, vcc, v1, v22, vcc
	;; [unrolled: 2-line block ×3, first 2 shown]
	s_movk_i32 s6, 0x3000
	global_load_dwordx4 v[68:71], v[0:1], off
	v_add_co_u32_e32 v40, vcc, s6, v208
	global_load_dwordx4 v[72:75], v[20:21], off
	global_load_dwordx4 v[16:19], v[38:39], off offset:1216
	global_load_dwordx4 v[0:3], v[38:39], off offset:2784
	v_addc_co_u32_e32 v41, vcc, 0, v209, vcc
	global_load_dwordx4 v[76:79], v[42:43], off
	global_load_dwordx4 v[20:23], v[40:41], off offset:256
	s_load_dwordx2 s[6:7], s[4:5], 0x38
	s_load_dwordx4 s[8:11], s[2:3], 0x0
	v_cmp_gt_u16_e32 vcc, 35, v212
	s_waitcnt vmcnt(15)
	v_mul_f64 v[80:81], v[46:47], v[34:35]
	v_mul_f64 v[82:83], v[44:45], v[34:35]
	s_waitcnt vmcnt(14)
	v_mul_f64 v[84:85], v[50:51], v[26:27]
	v_fma_f64 v[44:45], v[44:45], v[32:33], v[80:81]
	v_fma_f64 v[46:47], v[46:47], v[32:33], -v[82:83]
	v_mul_f64 v[80:81], v[48:49], v[26:27]
	s_waitcnt vmcnt(12)
	v_mul_f64 v[82:83], v[54:55], v[6:7]
	v_mul_f64 v[86:87], v[52:53], v[6:7]
	ds_write_b128 v211, v[44:47]
	v_fma_f64 v[44:45], v[48:49], v[24:25], v[84:85]
	v_fma_f64 v[46:47], v[50:51], v[24:25], -v[80:81]
	s_waitcnt vmcnt(9)
	v_mul_f64 v[88:89], v[58:59], v[30:31]
	v_mul_f64 v[90:91], v[56:57], v[30:31]
	s_waitcnt vmcnt(8)
	v_mul_f64 v[92:93], v[62:63], v[14:15]
	v_mul_f64 v[94:95], v[60:61], v[14:15]
	v_fma_f64 v[48:49], v[52:53], v[4:5], v[82:83]
	v_fma_f64 v[50:51], v[54:55], v[4:5], -v[86:87]
	v_fma_f64 v[52:53], v[56:57], v[28:29], v[88:89]
	v_fma_f64 v[54:55], v[58:59], v[28:29], -v[90:91]
	;; [unrolled: 2-line block ×3, first 2 shown]
	s_waitcnt vmcnt(6)
	v_mul_f64 v[60:61], v[66:67], v[10:11]
	v_mul_f64 v[62:63], v[64:65], v[10:11]
	v_fma_f64 v[60:61], v[64:65], v[8:9], v[60:61]
	v_fma_f64 v[62:63], v[66:67], v[8:9], -v[62:63]
	s_waitcnt vmcnt(3)
	v_mul_f64 v[80:81], v[70:71], v[18:19]
	v_mul_f64 v[82:83], v[68:69], v[18:19]
	s_waitcnt vmcnt(2)
	v_mul_f64 v[84:85], v[74:75], v[2:3]
	v_mul_f64 v[86:87], v[72:73], v[2:3]
	;; [unrolled: 3-line block ×3, first 2 shown]
	v_fma_f64 v[64:65], v[68:69], v[16:17], v[80:81]
	v_fma_f64 v[66:67], v[70:71], v[16:17], -v[82:83]
	v_fma_f64 v[68:69], v[72:73], v[0:1], v[84:85]
	v_fma_f64 v[70:71], v[74:75], v[0:1], -v[86:87]
	;; [unrolled: 2-line block ×3, first 2 shown]
	ds_write_b128 v211, v[44:47] offset:1568
	ds_write_b128 v211, v[48:51] offset:3136
	;; [unrolled: 1-line block ×8, first 2 shown]
	s_and_saveexec_b64 s[18:19], vcc
	s_cbranch_execz .LBB0_3
; %bb.2:
	v_mov_b32_e32 v44, 0xffffd2f0
	v_mad_u64_u32 v[46:47], s[2:3], s12, v44, v[42:43]
	s_mul_i32 s2, s13, 0xffffd2f0
	s_sub_i32 s2, s2, s12
	v_add_u32_e32 v47, s2, v47
	v_mov_b32_e32 v106, s17
	v_add_co_u32_e64 v58, s[2:3], s16, v46
	v_addc_co_u32_e64 v59, s[2:3], v47, v106, s[2:3]
	v_add_co_u32_e64 v62, s[2:3], s16, v58
	v_addc_co_u32_e64 v63, s[2:3], v59, v106, s[2:3]
	;; [unrolled: 2-line block ×3, first 2 shown]
	v_add_co_u32_e64 v78, s[2:3], s16, v74
	global_load_dwordx4 v[42:45], v[46:47], off
	v_addc_co_u32_e64 v79, s[2:3], v75, v106, s[2:3]
	global_load_dwordx4 v[46:49], v[58:59], off
	global_load_dwordx4 v[50:53], v[208:209], off offset:1008
	global_load_dwordx4 v[54:57], v[208:209], off offset:2576
	v_add_co_u32_e64 v90, s[2:3], s16, v78
	global_load_dwordx4 v[58:61], v[62:63], off
	v_addc_co_u32_e64 v91, s[2:3], v79, v106, s[2:3]
	global_load_dwordx4 v[62:65], v[74:75], off
	global_load_dwordx4 v[66:69], v[36:37], off offset:48
	global_load_dwordx4 v[70:73], v[36:37], off offset:1616
	s_waitcnt vmcnt(1)
	v_mul_f64 v[112:113], v[60:61], v[68:69]
	global_load_dwordx4 v[74:77], v[78:79], off
	s_nop 0
	global_load_dwordx4 v[78:81], v[90:91], off
	global_load_dwordx4 v[82:85], v[36:37], off offset:3184
	global_load_dwordx4 v[86:89], v[38:39], off offset:656
	v_add_co_u32_e64 v36, s[2:3], s16, v90
	v_addc_co_u32_e64 v37, s[2:3], v91, v106, s[2:3]
	global_load_dwordx4 v[90:93], v[36:37], off
	v_add_co_u32_e64 v36, s[2:3], s16, v36
	v_addc_co_u32_e64 v37, s[2:3], v37, v106, s[2:3]
	global_load_dwordx4 v[94:97], v[36:37], off
	global_load_dwordx4 v[98:101], v[38:39], off offset:2224
	global_load_dwordx4 v[102:105], v[38:39], off offset:3792
	v_add_co_u32_e64 v110, s[2:3], s16, v36
	v_addc_co_u32_e64 v111, s[2:3], v37, v106, s[2:3]
	global_load_dwordx4 v[36:39], v[40:41], off offset:1264
	global_load_dwordx4 v[106:109], v[110:111], off
	v_mul_f64 v[40:41], v[44:45], v[52:53]
	v_mul_f64 v[52:53], v[42:43], v[52:53]
	;; [unrolled: 1-line block ×5, first 2 shown]
	s_waitcnt vmcnt(10)
	v_mul_f64 v[114:115], v[64:65], v[72:73]
	v_mul_f64 v[72:73], v[62:63], v[72:73]
	v_fma_f64 v[40:41], v[42:43], v[50:51], v[40:41]
	v_fma_f64 v[42:43], v[44:45], v[50:51], -v[52:53]
	v_fma_f64 v[44:45], v[46:47], v[54:55], v[110:111]
	v_fma_f64 v[46:47], v[48:49], v[54:55], -v[56:57]
	;; [unrolled: 2-line block ×4, first 2 shown]
	ds_write_b128 v211, v[40:43] offset:1008
	s_waitcnt vmcnt(7)
	v_mul_f64 v[116:117], v[76:77], v[84:85]
	v_mul_f64 v[84:85], v[74:75], v[84:85]
	s_waitcnt vmcnt(6)
	v_mul_f64 v[118:119], v[80:81], v[88:89]
	v_mul_f64 v[88:89], v[78:79], v[88:89]
	v_fma_f64 v[56:57], v[74:75], v[82:83], v[116:117]
	v_fma_f64 v[58:59], v[76:77], v[82:83], -v[84:85]
	s_waitcnt vmcnt(3)
	v_mul_f64 v[120:121], v[92:93], v[100:101]
	v_mul_f64 v[100:101], v[90:91], v[100:101]
	s_waitcnt vmcnt(2)
	v_mul_f64 v[122:123], v[96:97], v[104:105]
	v_mul_f64 v[104:105], v[94:95], v[104:105]
	v_fma_f64 v[60:61], v[78:79], v[86:87], v[118:119]
	v_fma_f64 v[62:63], v[80:81], v[86:87], -v[88:89]
	s_waitcnt vmcnt(0)
	v_mul_f64 v[124:125], v[108:109], v[38:39]
	v_mul_f64 v[126:127], v[106:107], v[38:39]
	v_fma_f64 v[64:65], v[90:91], v[98:99], v[120:121]
	v_fma_f64 v[66:67], v[92:93], v[98:99], -v[100:101]
	v_fma_f64 v[68:69], v[94:95], v[102:103], v[122:123]
	v_fma_f64 v[70:71], v[96:97], v[102:103], -v[104:105]
	;; [unrolled: 2-line block ×3, first 2 shown]
	ds_write_b128 v211, v[44:47] offset:2576
	ds_write_b128 v211, v[48:51] offset:4144
	;; [unrolled: 1-line block ×8, first 2 shown]
.LBB0_3:
	s_or_b64 exec, exec, s[18:19]
	s_waitcnt lgkmcnt(0)
	; wave barrier
	s_waitcnt lgkmcnt(0)
	ds_read_b128 v[48:51], v211
	ds_read_b128 v[100:103], v211 offset:1568
	ds_read_b128 v[92:95], v211 offset:3136
	;; [unrolled: 1-line block ×8, first 2 shown]
	s_load_dwordx2 s[4:5], s[4:5], 0x8
                                        ; implicit-def: $vgpr36_vgpr37
                                        ; implicit-def: $vgpr52_vgpr53
                                        ; implicit-def: $vgpr56_vgpr57
                                        ; implicit-def: $vgpr68_vgpr69
                                        ; implicit-def: $vgpr40_vgpr41
                                        ; implicit-def: $vgpr44_vgpr45
                                        ; implicit-def: $vgpr72_vgpr73
                                        ; implicit-def: $vgpr76_vgpr77
                                        ; implicit-def: $vgpr80_vgpr81
	s_and_saveexec_b64 s[2:3], vcc
	s_cbranch_execz .LBB0_5
; %bb.4:
	ds_read_b128 v[36:39], v211 offset:1008
	ds_read_b128 v[52:55], v211 offset:2576
	;; [unrolled: 1-line block ×9, first 2 shown]
.LBB0_5:
	s_or_b64 exec, exec, s[2:3]
	s_waitcnt lgkmcnt(0)
	v_add_f64 v[116:117], v[100:101], -v[104:105]
	v_add_f64 v[118:119], v[102:103], -v[106:107]
	s_mov_b32 s30, 0x523c161c
	s_mov_b32 s31, 0x3fe491b7
	v_add_f64 v[100:101], v[100:101], v[104:105]
	v_add_f64 v[102:103], v[102:103], v[106:107]
	v_add_f64 v[112:113], v[92:93], -v[96:97]
	v_add_f64 v[114:115], v[94:95], -v[98:99]
	v_mul_f64 v[104:105], v[116:117], s[30:31]
	v_mul_f64 v[106:107], v[118:119], s[30:31]
	s_mov_b32 s18, 0x8c811c17
	s_mov_b32 s19, 0x3fef838b
	v_add_f64 v[92:93], v[92:93], v[96:97]
	v_add_f64 v[94:95], v[94:95], v[98:99]
	v_add_f64 v[96:97], v[84:85], -v[88:89]
	v_add_f64 v[98:99], v[86:87], -v[90:91]
	v_fma_f64 v[104:105], v[112:113], s[18:19], v[104:105]
	v_fma_f64 v[106:107], v[114:115], s[18:19], v[106:107]
	s_mov_b32 s12, 0xe8584cab
	s_mov_b32 s20, 0xa2cf5039
	;; [unrolled: 1-line block ×4, first 2 shown]
	v_add_f64 v[120:121], v[84:85], v[88:89]
	v_add_f64 v[89:90], v[86:87], v[90:91]
	v_add_f64 v[122:123], v[64:65], -v[60:61]
	v_add_f64 v[124:125], v[66:67], -v[62:63]
	v_fma_f64 v[84:85], v[96:97], s[12:13], v[104:105]
	v_fma_f64 v[86:87], v[98:99], s[12:13], v[106:107]
	;; [unrolled: 1-line block ×4, first 2 shown]
	v_add_f64 v[126:127], v[64:65], v[60:61]
	v_add_f64 v[128:129], v[66:67], v[62:63]
	s_mov_b32 s16, 0x748a0bf8
	s_mov_b32 s22, 0x7e0b738b
	;; [unrolled: 1-line block ×6, first 2 shown]
	v_fma_f64 v[108:109], v[122:123], s[16:17], v[84:85]
	v_fma_f64 v[110:111], v[124:125], s[16:17], v[86:87]
	;; [unrolled: 1-line block ×4, first 2 shown]
	v_mul_f64 v[104:105], v[122:123], s[26:27]
	v_mul_f64 v[106:107], v[124:125], s[26:27]
	v_fma_f64 v[130:131], v[126:127], s[20:21], v[48:49]
	v_fma_f64 v[132:133], v[128:129], s[20:21], v[50:51]
	s_mov_b32 s29, 0xbfebb67a
	s_mov_b32 s28, s12
	v_add_f64 v[134:135], v[122:123], v[116:117]
	v_add_f64 v[136:137], v[124:125], v[118:119]
	v_fma_f64 v[104:105], v[116:117], s[18:19], v[104:105]
	v_fma_f64 v[106:107], v[118:119], s[18:19], v[106:107]
	;; [unrolled: 1-line block ×4, first 2 shown]
	v_add_f64 v[142:143], v[92:93], v[100:101]
	v_add_f64 v[144:145], v[94:95], v[102:103]
	v_mul_f64 v[122:123], v[122:123], s[18:19]
	v_mul_f64 v[124:125], v[124:125], s[18:19]
	v_fma_f64 v[104:105], v[96:97], s[28:29], v[104:105]
	v_fma_f64 v[106:107], v[98:99], s[28:29], v[106:107]
	v_fma_f64 v[130:131], v[120:121], -0.5, v[130:131]
	v_fma_f64 v[132:133], v[89:90], -0.5, v[132:133]
	s_mov_b32 s24, 0x42522d1b
	s_mov_b32 s25, 0xbfee11f6
	v_fma_f64 v[84:85], v[120:121], -0.5, v[84:85]
	v_fma_f64 v[86:87], v[89:90], -0.5, v[86:87]
	v_fma_f64 v[138:139], v[112:113], s[16:17], v[104:105]
	v_fma_f64 v[140:141], v[114:115], s[16:17], v[106:107]
	;; [unrolled: 1-line block ×4, first 2 shown]
	v_add_f64 v[134:135], v[134:135], -v[112:113]
	v_add_f64 v[136:137], v[136:137], -v[114:115]
	v_fma_f64 v[91:92], v[92:93], s[20:21], v[48:49]
	v_fma_f64 v[93:94], v[94:95], s[20:21], v[50:51]
	v_fma_f64 v[112:113], v[112:113], s[26:27], -v[122:123]
	v_fma_f64 v[114:115], v[114:115], s[26:27], -v[124:125]
	v_add_f64 v[122:123], v[120:121], v[142:143]
	v_add_f64 v[124:125], v[89:90], v[144:145]
	v_fma_f64 v[84:85], v[126:127], s[24:25], v[84:85]
	v_fma_f64 v[87:88], v[128:129], s[24:25], v[86:87]
	v_add_f64 v[146:147], v[48:49], v[120:121]
	v_add_f64 v[148:149], v[50:51], v[89:90]
	;; [unrolled: 1-line block ×4, first 2 shown]
	v_fma_f64 v[91:92], v[126:127], s[22:23], v[91:92]
	v_fma_f64 v[93:94], v[128:129], s[22:23], v[93:94]
	v_add_f64 v[64:65], v[64:65], v[122:123]
	v_add_f64 v[66:67], v[66:67], v[124:125]
	;; [unrolled: 1-line block ×3, first 2 shown]
	v_add_f64 v[87:88], v[87:88], -v[108:109]
	v_fma_f64 v[126:127], v[150:151], -0.5, v[146:147]
	v_fma_f64 v[128:129], v[152:153], -0.5, v[148:149]
	v_fma_f64 v[95:96], v[96:97], s[12:13], v[112:113]
	v_fma_f64 v[97:98], v[98:99], s[12:13], v[114:115]
	v_fma_f64 v[91:92], v[120:121], -0.5, v[91:92]
	v_fma_f64 v[89:90], v[89:90], -0.5, v[93:94]
	v_add_f64 v[60:61], v[60:61], v[64:65]
	v_add_f64 v[62:63], v[62:63], v[66:67]
	v_fma_f64 v[104:105], v[110:111], -2.0, v[85:86]
	v_fma_f64 v[106:107], v[108:109], 2.0, v[87:88]
	v_add_f64 v[108:109], v[130:131], v[140:141]
	v_add_f64 v[110:111], v[132:133], -v[138:139]
	v_mul_f64 v[130:131], v[134:135], s[12:13]
	v_mul_f64 v[132:133], v[136:137], s[12:13]
	v_fma_f64 v[112:113], v[136:137], s[12:13], v[126:127]
	v_fma_f64 v[114:115], v[134:135], s[28:29], v[128:129]
	;; [unrolled: 1-line block ×6, first 2 shown]
	v_add_f64 v[124:125], v[48:49], v[60:61]
	v_add_f64 v[126:127], v[50:51], v[62:63]
	;; [unrolled: 1-line block ×4, first 2 shown]
	v_add_f64 v[52:53], v[52:53], -v[80:81]
	v_add_f64 v[54:55], v[54:55], -v[82:83]
	v_add_f64 v[97:98], v[40:41], v[44:45]
	v_add_f64 v[99:100], v[42:43], v[46:47]
	v_fma_f64 v[120:121], v[132:133], -2.0, v[112:113]
	v_fma_f64 v[122:123], v[130:131], 2.0, v[114:115]
	v_add_f64 v[128:129], v[95:96], v[64:65]
	v_add_f64 v[130:131], v[66:67], -v[93:94]
	v_add_f64 v[89:90], v[56:57], v[76:77]
	v_add_f64 v[91:92], v[58:59], v[78:79]
	v_add_f64 v[64:65], v[68:69], v[72:73]
	v_add_f64 v[66:67], v[70:71], v[74:75]
	v_add_f64 v[56:57], v[56:57], -v[76:77]
	v_add_f64 v[58:59], v[58:59], -v[78:79]
	;; [unrolled: 1-line block ×4, first 2 shown]
	v_mul_f64 v[48:49], v[52:53], s[30:31]
	v_mul_f64 v[50:51], v[54:55], s[30:31]
	v_fma_f64 v[68:69], v[60:61], s[20:21], v[36:37]
	v_fma_f64 v[70:71], v[62:63], s[20:21], v[38:39]
	v_add_f64 v[80:81], v[40:41], -v[44:45]
	v_add_f64 v[82:83], v[42:43], -v[46:47]
	v_fma_f64 v[101:102], v[97:98], s[20:21], v[36:37]
	v_fma_f64 v[132:133], v[99:100], s[20:21], v[38:39]
	;; [unrolled: 1-line block ×6, first 2 shown]
	v_mul_f64 v[72:73], v[80:81], s[26:27]
	v_mul_f64 v[74:75], v[82:83], s[26:27]
	v_fma_f64 v[101:102], v[60:61], s[22:23], v[101:102]
	v_fma_f64 v[132:133], v[62:63], s[22:23], v[132:133]
	;; [unrolled: 1-line block ×4, first 2 shown]
	v_fma_f64 v[68:69], v[64:65], -0.5, v[68:69]
	v_fma_f64 v[70:71], v[66:67], -0.5, v[70:71]
	v_fma_f64 v[72:73], v[52:53], s[18:19], v[72:73]
	v_fma_f64 v[74:75], v[54:55], s[18:19], v[74:75]
	v_fma_f64 v[101:102], v[64:65], -0.5, v[101:102]
	v_fma_f64 v[132:133], v[66:67], -0.5, v[132:133]
	;; [unrolled: 1-line block ×3, first 2 shown]
	v_fma_f64 v[134:135], v[80:81], s[16:17], v[48:49]
	v_fma_f64 v[136:137], v[82:83], s[16:17], v[50:51]
	;; [unrolled: 1-line block ×6, first 2 shown]
	v_fma_f64 v[72:73], v[95:96], -2.0, v[128:129]
	v_fma_f64 v[95:96], v[89:90], s[24:25], v[101:102]
	v_fma_f64 v[101:102], v[91:92], s[24:25], v[132:133]
	v_mul_f64 v[132:133], v[80:81], s[18:19]
	v_mul_f64 v[140:141], v[82:83], s[18:19]
	v_fma_f64 v[142:143], v[89:90], s[20:21], v[36:37]
	v_fma_f64 v[144:145], v[91:92], s[20:21], v[38:39]
	v_fma_f64 v[118:119], v[138:139], 2.0, v[110:111]
	v_fma_f64 v[74:75], v[93:94], 2.0, v[130:131]
	v_fma_f64 v[93:94], v[56:57], s[16:17], v[68:69]
	v_fma_f64 v[138:139], v[58:59], s[16:17], v[70:71]
	v_add_f64 v[68:69], v[89:90], v[60:61]
	v_add_f64 v[70:71], v[91:92], v[62:63]
	v_fma_f64 v[89:90], v[56:57], s[26:27], -v[132:133]
	v_fma_f64 v[91:92], v[58:59], s[26:27], -v[140:141]
	v_fma_f64 v[132:133], v[97:98], s[22:23], v[142:143]
	v_fma_f64 v[140:141], v[99:100], s[22:23], v[144:145]
	v_add_f64 v[80:81], v[80:81], v[52:53]
	v_add_f64 v[82:83], v[82:83], v[54:55]
	;; [unrolled: 1-line block ×6, first 2 shown]
	v_fma_f64 v[76:77], v[76:77], s[12:13], v[89:90]
	v_fma_f64 v[78:79], v[78:79], s[12:13], v[91:92]
	v_fma_f64 v[89:90], v[64:65], -0.5, v[132:133]
	v_fma_f64 v[91:92], v[66:67], -0.5, v[140:141]
	v_add_f64 v[80:81], v[80:81], -v[56:57]
	v_add_f64 v[56:57], v[82:83], -v[58:59]
	v_fma_f64 v[58:59], v[97:98], -0.5, v[142:143]
	v_fma_f64 v[82:83], v[99:100], -0.5, v[144:145]
	v_fma_f64 v[132:133], v[52:53], s[16:17], v[76:77]
	v_fma_f64 v[76:77], v[54:55], s[16:17], v[78:79]
	;; [unrolled: 1-line block ×4, first 2 shown]
	v_add_f64 v[48:49], v[136:137], v[48:49]
	v_add_f64 v[50:51], v[50:51], -v[134:135]
	v_add_f64 v[60:61], v[95:96], v[138:139]
	v_add_f64 v[62:63], v[101:102], -v[93:94]
	v_mul_f64 v[78:79], v[80:81], s[12:13]
	v_mul_f64 v[89:90], v[56:57], s[12:13]
	v_fma_f64 v[56:57], v[56:57], s[12:13], v[58:59]
	v_fma_f64 v[58:59], v[80:81], s[28:29], v[82:83]
	v_add_f64 v[52:53], v[76:77], v[52:53]
	v_add_f64 v[54:55], v[54:55], -v[132:133]
	v_fma_f64 v[96:97], v[136:137], -2.0, v[48:49]
	v_fma_f64 v[98:99], v[134:135], 2.0, v[50:51]
	v_fma_f64 v[100:101], v[138:139], -2.0, v[60:61]
	v_fma_f64 v[102:103], v[93:94], 2.0, v[62:63]
	;; [unrolled: 2-line block ×4, first 2 shown]
	v_add_co_u32_e64 v84, s[2:3], 63, v212
	v_mul_lo_u16_e32 v80, 9, v212
	v_lshlrev_b32_e32 v214, 4, v80
	v_mul_u32_u24_e32 v213, 9, v84
	s_waitcnt lgkmcnt(0)
	; wave barrier
	ds_write_b128 v214, v[124:127]
	ds_write_b128 v214, v[85:88] offset:16
	ds_write_b128 v214, v[108:111] offset:32
	;; [unrolled: 1-line block ×8, first 2 shown]
	s_and_saveexec_b64 s[2:3], vcc
	s_cbranch_execz .LBB0_7
; %bb.6:
	v_add_f64 v[66:67], v[66:67], v[70:71]
	v_add_f64 v[64:65], v[64:65], v[68:69]
	;; [unrolled: 1-line block ×6, first 2 shown]
	v_lshlrev_b32_e32 v44, 4, v213
	v_add_f64 v[38:39], v[38:39], v[42:43]
	v_add_f64 v[36:37], v[36:37], v[40:41]
	ds_write_b128 v44, v[48:51] offset:16
	ds_write_b128 v44, v[60:63] offset:32
	;; [unrolled: 1-line block ×7, first 2 shown]
	ds_write_b128 v44, v[36:39]
	ds_write_b128 v44, v[96:99] offset:128
.LBB0_7:
	s_or_b64 exec, exec, s[2:3]
	v_mov_b32_e32 v36, 57
	v_mul_lo_u16_sdwa v37, v212, v36 dst_sel:DWORD dst_unused:UNUSED_PAD src0_sel:BYTE_0 src1_sel:DWORD
	v_lshrrev_b16_e32 v88, 9, v37
	v_mul_lo_u16_e32 v37, 9, v88
	v_sub_u16_e32 v37, v212, v37
	v_and_b32_e32 v89, 0xff, v37
	v_mul_u32_u24_e32 v37, 6, v89
	v_lshlrev_b32_e32 v37, 4, v37
	s_waitcnt lgkmcnt(0)
	; wave barrier
	s_waitcnt lgkmcnt(0)
	global_load_dwordx4 v[44:47], v37, s[4:5] offset:16
	global_load_dwordx4 v[52:55], v37, s[4:5]
	global_load_dwordx4 v[40:43], v37, s[4:5] offset:48
	global_load_dwordx4 v[48:51], v37, s[4:5] offset:32
	global_load_dwordx4 v[56:59], v37, s[4:5] offset:80
	global_load_dwordx4 v[60:63], v37, s[4:5] offset:64
	v_mul_lo_u16_sdwa v36, v84, v36 dst_sel:DWORD dst_unused:UNUSED_PAD src0_sel:BYTE_0 src1_sel:DWORD
	v_lshrrev_b16_e32 v206, 9, v36
	v_mul_lo_u16_e32 v36, 9, v206
	v_sub_u16_e32 v36, v84, v36
	v_and_b32_e32 v207, 0xff, v36
	v_mul_u32_u24_e32 v36, 6, v207
	v_lshlrev_b32_e32 v90, 4, v36
	global_load_dwordx4 v[80:83], v90, s[4:5]
	global_load_dwordx4 v[72:75], v90, s[4:5] offset:16
	global_load_dwordx4 v[68:71], v90, s[4:5] offset:32
	;; [unrolled: 1-line block ×5, first 2 shown]
	ds_read_b128 v[104:107], v211
	ds_read_b128 v[108:111], v211 offset:1008
	ds_read_b128 v[112:115], v211 offset:2016
	;; [unrolled: 1-line block ×13, first 2 shown]
	s_mov_b32 s12, 0x37e14327
	s_mov_b32 s2, 0x36b3c0b5
	;; [unrolled: 1-line block ×20, first 2 shown]
	v_mul_u32_u24_e32 v88, 63, v88
	v_add_lshl_u32 v215, v88, v89, 4
	v_mul_u32_u24_e32 v88, 63, v206
	v_add_lshl_u32 v216, v88, v207, 4
	v_mov_b32_e32 v89, s5
	s_movk_i32 s14, 0x60
	v_mov_b32_e32 v88, s4
	s_waitcnt lgkmcnt(0)
	; wave barrier
	s_waitcnt vmcnt(11) lgkmcnt(0)
	v_mul_f64 v[162:163], v[122:123], v[46:47]
	s_waitcnt vmcnt(10)
	v_mul_f64 v[90:91], v[114:115], v[54:55]
	v_mul_f64 v[160:161], v[112:113], v[54:55]
	v_mul_f64 v[164:165], v[120:121], v[46:47]
	s_waitcnt vmcnt(8)
	v_mul_f64 v[166:167], v[130:131], v[50:51]
	v_mul_f64 v[168:169], v[128:129], v[50:51]
	v_mul_f64 v[170:171], v[138:139], v[42:43]
	v_mul_f64 v[172:173], v[136:137], v[42:43]
	s_waitcnt vmcnt(6)
	v_mul_f64 v[174:175], v[146:147], v[62:63]
	;; [unrolled: 5-line block ×3, first 2 shown]
	v_mul_f64 v[184:185], v[116:117], v[82:83]
	s_waitcnt vmcnt(4)
	v_mul_f64 v[186:187], v[126:127], v[74:75]
	v_mul_f64 v[188:189], v[124:125], v[74:75]
	v_fma_f64 v[90:91], v[112:113], v[52:53], -v[90:91]
	v_fma_f64 v[112:113], v[114:115], v[52:53], v[160:161]
	v_fma_f64 v[114:115], v[120:121], v[44:45], -v[162:163]
	v_fma_f64 v[120:121], v[122:123], v[44:45], v[164:165]
	;; [unrolled: 2-line block ×8, first 2 shown]
	v_add_f64 v[124:125], v[114:115], v[138:139]
	v_add_f64 v[126:127], v[120:121], v[144:145]
	;; [unrolled: 1-line block ×4, first 2 shown]
	v_add_f64 v[90:91], v[90:91], -v[146:147]
	v_add_f64 v[112:113], v[112:113], -v[152:153]
	;; [unrolled: 1-line block ×4, first 2 shown]
	v_add_f64 v[138:139], v[122:123], v[130:131]
	v_add_f64 v[144:145], v[128:129], v[136:137]
	v_add_f64 v[122:123], v[130:131], -v[122:123]
	v_add_f64 v[128:129], v[136:137], -v[128:129]
	v_add_f64 v[130:131], v[124:125], v[116:117]
	v_add_f64 v[136:137], v[126:127], v[118:119]
	v_add_f64 v[146:147], v[124:125], -v[116:117]
	v_add_f64 v[152:153], v[126:127], -v[118:119]
	;; [unrolled: 1-line block ×6, first 2 shown]
	v_add_f64 v[166:167], v[122:123], v[114:115]
	v_add_f64 v[168:169], v[128:129], v[120:121]
	v_add_f64 v[170:171], v[122:123], -v[114:115]
	v_add_f64 v[172:173], v[128:129], -v[120:121]
	v_add_f64 v[130:131], v[138:139], v[130:131]
	v_add_f64 v[136:137], v[144:145], v[136:137]
	v_add_f64 v[114:115], v[114:115], -v[90:91]
	v_add_f64 v[120:121], v[120:121], -v[112:113]
	v_add_f64 v[122:123], v[90:91], -v[122:123]
	v_add_f64 v[128:129], v[112:113], -v[128:129]
	v_add_f64 v[90:91], v[166:167], v[90:91]
	v_add_f64 v[112:113], v[168:169], v[112:113]
	v_mul_f64 v[116:117], v[116:117], s[12:13]
	v_mul_f64 v[118:119], v[118:119], s[12:13]
	v_add_f64 v[104:105], v[104:105], v[130:131]
	v_add_f64 v[106:107], v[106:107], v[136:137]
	v_mul_f64 v[138:139], v[124:125], s[2:3]
	v_mul_f64 v[144:145], v[126:127], s[2:3]
	v_mul_f64 v[166:167], v[170:171], s[18:19]
	v_mul_f64 v[168:169], v[172:173], s[18:19]
	v_mul_f64 v[170:171], v[114:115], s[16:17]
	v_mul_f64 v[172:173], v[120:121], s[16:17]
	s_waitcnt vmcnt(1)
	v_mul_f64 v[198:199], v[150:151], v[86:87]
	v_mul_f64 v[200:201], v[148:149], v[86:87]
	s_waitcnt vmcnt(0)
	v_mul_f64 v[202:203], v[158:159], v[38:39]
	v_mul_f64 v[204:205], v[156:157], v[38:39]
	v_fma_f64 v[130:131], v[130:131], s[20:21], v[104:105]
	v_fma_f64 v[136:137], v[136:137], s[20:21], v[106:107]
	;; [unrolled: 1-line block ×4, first 2 shown]
	v_fma_f64 v[138:139], v[146:147], s[22:23], -v[138:139]
	v_fma_f64 v[144:145], v[152:153], s[22:23], -v[144:145]
	;; [unrolled: 1-line block ×4, first 2 shown]
	v_fma_f64 v[146:147], v[122:123], s[26:27], v[166:167]
	v_fma_f64 v[152:153], v[128:129], s[26:27], v[168:169]
	v_fma_f64 v[114:115], v[114:115], s[16:17], -v[166:167]
	v_fma_f64 v[122:123], v[122:123], s[30:31], -v[170:171]
	;; [unrolled: 1-line block ×3, first 2 shown]
	v_mul_f64 v[190:191], v[134:135], v[70:71]
	v_mul_f64 v[192:193], v[132:133], v[70:71]
	;; [unrolled: 1-line block ×4, first 2 shown]
	v_fma_f64 v[148:149], v[148:149], v[84:85], -v[198:199]
	v_fma_f64 v[150:151], v[150:151], v[84:85], v[200:201]
	v_fma_f64 v[120:121], v[120:121], s[16:17], -v[168:169]
	v_add_f64 v[166:167], v[124:125], v[130:131]
	v_add_f64 v[168:169], v[126:127], v[136:137]
	;; [unrolled: 1-line block ×6, first 2 shown]
	v_fma_f64 v[144:145], v[90:91], s[28:29], v[146:147]
	v_fma_f64 v[128:129], v[112:113], s[28:29], v[128:129]
	;; [unrolled: 1-line block ×4, first 2 shown]
	v_fma_f64 v[156:157], v[156:157], v[36:37], -v[202:203]
	v_fma_f64 v[158:159], v[158:159], v[36:37], v[204:205]
	v_fma_f64 v[132:133], v[132:133], v[68:69], -v[190:191]
	v_fma_f64 v[134:135], v[134:135], v[68:69], v[192:193]
	;; [unrolled: 2-line block ×3, first 2 shown]
	v_fma_f64 v[138:139], v[112:113], s[28:29], v[152:153]
	v_fma_f64 v[152:153], v[112:113], s[28:29], v[120:121]
	v_add_f64 v[116:117], v[128:129], v[130:131]
	v_add_f64 v[118:119], v[136:137], -v[146:147]
	v_add_f64 v[122:123], v[90:91], v[126:127]
	v_add_f64 v[126:127], v[126:127], -v[90:91]
	v_add_f64 v[128:129], v[130:131], -v[128:129]
	v_add_f64 v[130:131], v[146:147], v[136:137]
	v_add_f64 v[90:91], v[154:155], v[156:157]
	;; [unrolled: 1-line block ×3, first 2 shown]
	v_add_f64 v[146:147], v[154:155], -v[156:157]
	v_add_f64 v[154:155], v[162:163], v[148:149]
	v_add_f64 v[156:157], v[164:165], v[150:151]
	v_add_f64 v[120:121], v[124:125], -v[152:153]
	v_add_f64 v[124:125], v[152:153], v[124:125]
	v_add_f64 v[152:153], v[160:161], -v[158:159]
	v_add_f64 v[148:149], v[162:163], -v[148:149]
	;; [unrolled: 1-line block ×3, first 2 shown]
	v_add_f64 v[158:159], v[132:133], v[140:141]
	v_add_f64 v[160:161], v[134:135], v[142:143]
	v_add_f64 v[132:133], v[140:141], -v[132:133]
	v_add_f64 v[134:135], v[142:143], -v[134:135]
	v_add_f64 v[140:141], v[154:155], v[90:91]
	v_add_f64 v[142:143], v[156:157], v[136:137]
	v_add_f64 v[162:163], v[154:155], -v[90:91]
	v_add_f64 v[164:165], v[156:157], -v[136:137]
	;; [unrolled: 1-line block ×6, first 2 shown]
	v_add_f64 v[170:171], v[132:133], v[148:149]
	v_add_f64 v[172:173], v[134:135], v[150:151]
	v_add_f64 v[174:175], v[132:133], -v[148:149]
	v_add_f64 v[176:177], v[134:135], -v[150:151]
	v_add_f64 v[140:141], v[158:159], v[140:141]
	v_add_f64 v[142:143], v[160:161], v[142:143]
	v_add_f64 v[148:149], v[148:149], -v[146:147]
	v_add_f64 v[150:151], v[150:151], -v[152:153]
	;; [unrolled: 1-line block ×4, first 2 shown]
	v_add_f64 v[146:147], v[170:171], v[146:147]
	v_add_f64 v[152:153], v[172:173], v[152:153]
	;; [unrolled: 1-line block ×4, first 2 shown]
	v_mul_f64 v[90:91], v[90:91], s[12:13]
	v_mul_f64 v[136:137], v[136:137], s[12:13]
	;; [unrolled: 1-line block ×8, first 2 shown]
	v_fma_f64 v[140:141], v[140:141], s[20:21], v[108:109]
	v_fma_f64 v[142:143], v[142:143], s[20:21], v[110:111]
	;; [unrolled: 1-line block ×4, first 2 shown]
	v_fma_f64 v[158:159], v[162:163], s[22:23], -v[158:159]
	v_fma_f64 v[160:161], v[164:165], s[22:23], -v[160:161]
	;; [unrolled: 1-line block ×4, first 2 shown]
	v_fma_f64 v[162:163], v[132:133], s[26:27], v[170:171]
	v_fma_f64 v[164:165], v[134:135], s[26:27], v[172:173]
	v_fma_f64 v[148:149], v[148:149], s[16:17], -v[170:171]
	v_fma_f64 v[150:151], v[150:151], s[16:17], -v[172:173]
	;; [unrolled: 1-line block ×4, first 2 shown]
	v_add_f64 v[170:171], v[154:155], v[140:141]
	v_add_f64 v[172:173], v[156:157], v[142:143]
	;; [unrolled: 1-line block ×5, first 2 shown]
	v_fma_f64 v[160:161], v[152:153], s[28:29], v[164:165]
	v_fma_f64 v[162:163], v[146:147], s[28:29], v[162:163]
	;; [unrolled: 1-line block ×6, first 2 shown]
	v_add_f64 v[90:91], v[90:91], v[140:141]
	v_add_f64 v[112:113], v[138:139], v[166:167]
	v_add_f64 v[114:115], v[168:169], -v[144:145]
	v_add_f64 v[134:135], v[144:145], v[168:169]
	v_add_f64 v[132:133], v[166:167], -v[138:139]
	v_add_f64 v[142:143], v[158:159], -v[174:175]
	;; [unrolled: 1-line block ×3, first 2 shown]
	v_add_f64 v[146:147], v[152:153], v[156:157]
	v_add_f64 v[148:149], v[150:151], v[154:155]
	v_add_f64 v[150:151], v[156:157], -v[152:153]
	v_add_f64 v[154:155], v[174:175], v[158:159]
	v_add_f64 v[156:157], v[170:171], -v[160:161]
	v_add_f64 v[158:159], v[162:163], v[172:173]
	v_add_f64 v[136:137], v[160:161], v[170:171]
	v_add_f64 v[138:139], v[172:173], -v[162:163]
	v_add_f64 v[140:141], v[164:165], v[90:91]
	ds_write_b128 v215, v[104:107]
	ds_write_b128 v215, v[112:115] offset:144
	ds_write_b128 v215, v[116:119] offset:288
	;; [unrolled: 1-line block ×6, first 2 shown]
	v_mad_u64_u32 v[124:125], s[4:5], v212, s14, v[88:89]
	v_add_f64 v[152:153], v[90:91], -v[164:165]
	ds_write_b128 v216, v[108:111]
	ds_write_b128 v216, v[136:139] offset:144
	ds_write_b128 v216, v[140:143] offset:288
	;; [unrolled: 1-line block ×6, first 2 shown]
	s_waitcnt lgkmcnt(0)
	; wave barrier
	s_waitcnt lgkmcnt(0)
	global_load_dwordx4 v[116:119], v[124:125], off offset:864
	global_load_dwordx4 v[112:115], v[124:125], off offset:880
	;; [unrolled: 1-line block ×6, first 2 shown]
	ds_read_b128 v[126:129], v211
	ds_read_b128 v[130:133], v211 offset:1008
	ds_read_b128 v[134:137], v211 offset:2016
	;; [unrolled: 1-line block ×13, first 2 shown]
	s_waitcnt lgkmcnt(0)
	; wave barrier
	s_waitcnt lgkmcnt(0)
	s_movk_i32 s5, 0x2000
	s_movk_i32 s4, 0x3000
	s_waitcnt vmcnt(5)
	v_mul_f64 v[182:183], v[136:137], v[118:119]
	v_mul_f64 v[184:185], v[134:135], v[118:119]
	s_waitcnt vmcnt(4)
	v_mul_f64 v[186:187], v[144:145], v[114:115]
	v_mul_f64 v[188:189], v[142:143], v[114:115]
	;; [unrolled: 3-line block ×3, first 2 shown]
	v_mul_f64 v[194:195], v[140:141], v[118:119]
	v_mul_f64 v[196:197], v[138:139], v[118:119]
	v_fma_f64 v[134:135], v[134:135], v[116:117], -v[182:183]
	v_fma_f64 v[136:137], v[136:137], v[116:117], v[184:185]
	v_fma_f64 v[142:143], v[142:143], v[112:113], -v[186:187]
	v_fma_f64 v[144:145], v[144:145], v[112:113], v[188:189]
	;; [unrolled: 2-line block ×3, first 2 shown]
	s_waitcnt vmcnt(2)
	v_mul_f64 v[182:183], v[160:161], v[106:107]
	v_mul_f64 v[184:185], v[158:159], v[106:107]
	s_waitcnt vmcnt(1)
	v_mul_f64 v[186:187], v[168:169], v[122:123]
	v_mul_f64 v[188:189], v[166:167], v[122:123]
	;; [unrolled: 3-line block ×3, first 2 shown]
	v_fma_f64 v[158:159], v[158:159], v[104:105], -v[182:183]
	v_fma_f64 v[160:161], v[160:161], v[104:105], v[184:185]
	v_fma_f64 v[166:167], v[166:167], v[120:121], -v[186:187]
	v_fma_f64 v[168:169], v[168:169], v[120:121], v[188:189]
	;; [unrolled: 2-line block ×4, first 2 shown]
	v_mul_f64 v[138:139], v[148:149], v[114:115]
	v_mul_f64 v[140:141], v[146:147], v[114:115]
	;; [unrolled: 1-line block ×8, first 2 shown]
	v_fma_f64 v[198:199], v[146:147], v[112:113], -v[138:139]
	v_fma_f64 v[200:201], v[148:149], v[112:113], v[140:141]
	v_add_f64 v[146:147], v[134:135], v[174:175]
	v_add_f64 v[148:149], v[136:137], v[176:177]
	v_add_f64 v[134:135], v[134:135], -v[174:175]
	v_add_f64 v[136:137], v[136:137], -v[176:177]
	v_add_f64 v[174:175], v[142:143], v[166:167]
	v_add_f64 v[176:177], v[144:145], v[168:169]
	v_add_f64 v[142:143], v[142:143], -v[166:167]
	v_add_f64 v[144:145], v[144:145], -v[168:169]
	v_add_f64 v[166:167], v[150:151], v[158:159]
	v_add_f64 v[168:169], v[152:153], v[160:161]
	v_add_f64 v[150:151], v[158:159], -v[150:151]
	v_add_f64 v[152:153], v[160:161], -v[152:153]
	v_add_f64 v[158:159], v[174:175], v[146:147]
	v_add_f64 v[160:161], v[176:177], v[148:149]
	v_fma_f64 v[154:155], v[154:155], v[108:109], -v[186:187]
	v_fma_f64 v[156:157], v[156:157], v[108:109], v[188:189]
	v_fma_f64 v[162:163], v[162:163], v[104:105], -v[190:191]
	v_fma_f64 v[164:165], v[164:165], v[104:105], v[192:193]
	;; [unrolled: 2-line block ×3, first 2 shown]
	v_add_f64 v[186:187], v[174:175], -v[146:147]
	v_add_f64 v[188:189], v[176:177], -v[148:149]
	;; [unrolled: 1-line block ×6, first 2 shown]
	v_add_f64 v[190:191], v[150:151], v[142:143]
	v_add_f64 v[192:193], v[152:153], v[144:145]
	v_add_f64 v[194:195], v[150:151], -v[142:143]
	v_add_f64 v[196:197], v[152:153], -v[144:145]
	v_add_f64 v[158:159], v[166:167], v[158:159]
	v_add_f64 v[160:161], v[168:169], v[160:161]
	v_add_f64 v[142:143], v[142:143], -v[134:135]
	v_add_f64 v[144:145], v[144:145], -v[136:137]
	;; [unrolled: 1-line block ×4, first 2 shown]
	v_add_f64 v[134:135], v[190:191], v[134:135]
	v_add_f64 v[136:137], v[192:193], v[136:137]
	;; [unrolled: 1-line block ×4, first 2 shown]
	v_mul_f64 v[146:147], v[146:147], s[12:13]
	v_mul_f64 v[148:149], v[148:149], s[12:13]
	v_mul_f64 v[166:167], v[174:175], s[2:3]
	v_mul_f64 v[168:169], v[176:177], s[2:3]
	v_mul_f64 v[190:191], v[194:195], s[18:19]
	v_mul_f64 v[192:193], v[196:197], s[18:19]
	v_mul_f64 v[194:195], v[142:143], s[16:17]
	v_mul_f64 v[196:197], v[144:145], s[16:17]
	v_mul_f64 v[138:139], v[180:181], v[90:91]
	v_mul_f64 v[140:141], v[178:179], v[90:91]
	v_fma_f64 v[158:159], v[158:159], s[20:21], v[126:127]
	v_fma_f64 v[160:161], v[160:161], s[20:21], v[128:129]
	;; [unrolled: 1-line block ×4, first 2 shown]
	v_fma_f64 v[166:167], v[186:187], s[22:23], -v[166:167]
	v_fma_f64 v[168:169], v[188:189], s[22:23], -v[168:169]
	;; [unrolled: 1-line block ×4, first 2 shown]
	v_fma_f64 v[186:187], v[150:151], s[26:27], v[190:191]
	v_fma_f64 v[188:189], v[152:153], s[26:27], v[192:193]
	v_fma_f64 v[142:143], v[142:143], s[16:17], -v[190:191]
	v_fma_f64 v[144:145], v[144:145], s[16:17], -v[192:193]
	;; [unrolled: 1-line block ×4, first 2 shown]
	v_add_f64 v[174:175], v[174:175], v[158:159]
	v_add_f64 v[176:177], v[176:177], v[160:161]
	;; [unrolled: 1-line block ×6, first 2 shown]
	v_fma_f64 v[190:191], v[134:135], s[28:29], v[150:151]
	v_fma_f64 v[152:153], v[136:137], s[28:29], v[152:153]
	;; [unrolled: 1-line block ×4, first 2 shown]
	v_fma_f64 v[178:179], v[178:179], v[88:89], -v[138:139]
	v_fma_f64 v[180:181], v[180:181], v[88:89], v[140:141]
	v_fma_f64 v[188:189], v[136:137], s[28:29], v[188:189]
	;; [unrolled: 1-line block ×3, first 2 shown]
	v_add_f64 v[140:141], v[160:161], -v[190:191]
	v_add_f64 v[138:139], v[152:153], v[158:159]
	v_add_f64 v[142:143], v[166:167], -v[146:147]
	v_add_f64 v[144:145], v[148:149], v[168:169]
	v_add_f64 v[146:147], v[146:147], v[166:167]
	v_add_f64 v[148:149], v[168:169], -v[148:149]
	v_add_f64 v[150:151], v[158:159], -v[152:153]
	v_add_f64 v[152:153], v[190:191], v[160:161]
	v_add_f64 v[158:159], v[182:183], v[178:179]
	;; [unrolled: 1-line block ×3, first 2 shown]
	v_add_f64 v[166:167], v[182:183], -v[178:179]
	v_add_f64 v[168:169], v[184:185], -v[180:181]
	v_add_f64 v[178:179], v[198:199], v[170:171]
	v_add_f64 v[180:181], v[200:201], v[172:173]
	v_add_f64 v[170:171], v[198:199], -v[170:171]
	v_add_f64 v[172:173], v[200:201], -v[172:173]
	v_add_f64 v[182:183], v[154:155], v[162:163]
	v_add_f64 v[184:185], v[156:157], v[164:165]
	;; [unrolled: 4-line block ×3, first 2 shown]
	v_add_f64 v[190:191], v[178:179], -v[158:159]
	v_add_f64 v[192:193], v[180:181], -v[160:161]
	;; [unrolled: 1-line block ×6, first 2 shown]
	v_add_f64 v[194:195], v[154:155], v[170:171]
	v_add_f64 v[196:197], v[156:157], v[172:173]
	v_add_f64 v[198:199], v[154:155], -v[170:171]
	v_add_f64 v[200:201], v[156:157], -v[172:173]
	v_add_f64 v[162:163], v[182:183], v[162:163]
	v_add_f64 v[164:165], v[184:185], v[164:165]
	v_add_f64 v[170:171], v[170:171], -v[166:167]
	v_add_f64 v[172:173], v[172:173], -v[168:169]
	;; [unrolled: 1-line block ×4, first 2 shown]
	v_add_f64 v[166:167], v[194:195], v[166:167]
	v_add_f64 v[168:169], v[196:197], v[168:169]
	v_add_f64 v[130:131], v[130:131], v[162:163]
	v_add_f64 v[132:133], v[132:133], v[164:165]
	v_mul_f64 v[158:159], v[158:159], s[12:13]
	v_mul_f64 v[160:161], v[160:161], s[12:13]
	;; [unrolled: 1-line block ×8, first 2 shown]
	v_fma_f64 v[162:163], v[162:163], s[20:21], v[130:131]
	v_fma_f64 v[164:165], v[164:165], s[20:21], v[132:133]
	;; [unrolled: 1-line block ×4, first 2 shown]
	v_fma_f64 v[182:183], v[190:191], s[22:23], -v[182:183]
	v_fma_f64 v[184:185], v[192:193], s[22:23], -v[184:185]
	;; [unrolled: 1-line block ×4, first 2 shown]
	v_fma_f64 v[190:191], v[154:155], s[26:27], v[194:195]
	v_fma_f64 v[192:193], v[156:157], s[26:27], v[196:197]
	v_fma_f64 v[170:171], v[170:171], s[16:17], -v[194:195]
	v_fma_f64 v[172:173], v[172:173], s[16:17], -v[196:197]
	;; [unrolled: 1-line block ×4, first 2 shown]
	v_add_f64 v[178:179], v[178:179], v[162:163]
	v_add_f64 v[180:181], v[180:181], v[164:165]
	;; [unrolled: 1-line block ×6, first 2 shown]
	v_fma_f64 v[192:193], v[168:169], s[28:29], v[192:193]
	v_fma_f64 v[190:191], v[166:167], s[28:29], v[190:191]
	;; [unrolled: 1-line block ×6, first 2 shown]
	v_add_f64 v[134:135], v[188:189], v[174:175]
	v_add_f64 v[136:137], v[176:177], -v[186:187]
	v_add_f64 v[154:155], v[174:175], -v[188:189]
	v_add_f64 v[156:157], v[186:187], v[176:177]
	v_add_f64 v[158:159], v[192:193], v[178:179]
	v_add_f64 v[160:161], v[180:181], -v[190:191]
	v_add_f64 v[162:163], v[198:199], v[194:195]
	v_add_f64 v[164:165], v[196:197], -v[200:201]
	v_add_f64 v[166:167], v[182:183], -v[172:173]
	v_add_f64 v[168:169], v[202:203], v[184:185]
	v_add_f64 v[170:171], v[172:173], v[182:183]
	v_add_f64 v[172:173], v[184:185], -v[202:203]
	v_add_f64 v[174:175], v[194:195], -v[198:199]
	v_add_f64 v[176:177], v[200:201], v[196:197]
	v_add_f64 v[178:179], v[178:179], -v[192:193]
	v_add_f64 v[180:181], v[190:191], v[180:181]
	ds_write_b128 v211, v[126:129]
	ds_write_b128 v211, v[134:137] offset:1008
	ds_write_b128 v211, v[138:141] offset:2016
	;; [unrolled: 1-line block ×13, first 2 shown]
	v_mul_i32_i24_e32 v127, 0xffffffb0, v212
	v_mul_hi_i32_i24_e32 v126, 0xffffffb0, v212
	v_add_co_u32_e64 v142, s[2:3], v124, v127
	v_addc_co_u32_e64 v143, s[2:3], v125, v126, s[2:3]
	s_movk_i32 s12, 0x1000
	v_add_co_u32_e64 v128, s[2:3], s12, v142
	v_addc_co_u32_e64 v129, s[2:3], 0, v143, s[2:3]
	s_waitcnt lgkmcnt(0)
	; wave barrier
	s_waitcnt lgkmcnt(0)
	global_load_dwordx4 v[124:127], v[128:129], off offset:2816
	s_nop 0
	global_load_dwordx4 v[128:131], v[128:129], off offset:3824
	v_add_co_u32_e64 v140, s[2:3], s5, v142
	v_addc_co_u32_e64 v141, s[2:3], 0, v143, s[2:3]
	global_load_dwordx4 v[132:135], v[140:141], off offset:736
	global_load_dwordx4 v[136:139], v[140:141], off offset:1744
	;; [unrolled: 1-line block ×4, first 2 shown]
	v_add_co_u32_e64 v140, s[2:3], s4, v142
	v_addc_co_u32_e64 v141, s[2:3], 0, v143, s[2:3]
	global_load_dwordx4 v[140:143], v[140:141], off offset:672
	v_mov_b32_e32 v152, s15
	v_addc_co_u32_e64 v233, s[0:1], 0, v152, s[0:1]
	ds_read_b128 v[152:155], v211 offset:7056
	ds_read_b128 v[156:159], v211
	ds_read_b128 v[160:163], v211 offset:1008
	ds_read_b128 v[164:167], v211 offset:8064
	;; [unrolled: 1-line block ×12, first 2 shown]
	s_waitcnt vmcnt(6) lgkmcnt(13)
	v_mul_f64 v[217:218], v[154:155], v[126:127]
	v_mul_f64 v[219:220], v[152:153], v[126:127]
	s_waitcnt vmcnt(5) lgkmcnt(10)
	v_mul_f64 v[221:222], v[166:167], v[130:131]
	v_mul_f64 v[223:224], v[164:165], v[130:131]
	;; [unrolled: 3-line block ×3, first 2 shown]
	s_waitcnt vmcnt(1) lgkmcnt(1)
	v_mul_f64 v[229:230], v[202:203], v[150:151]
	v_fma_f64 v[152:153], v[152:153], v[124:125], -v[217:218]
	v_fma_f64 v[154:155], v[154:155], v[124:125], v[219:220]
	v_mul_f64 v[217:218], v[170:171], v[134:135]
	v_mul_f64 v[219:220], v[168:169], v[134:135]
	v_fma_f64 v[164:165], v[164:165], v[128:129], -v[221:222]
	v_fma_f64 v[166:167], v[166:167], v[128:129], v[223:224]
	v_mul_f64 v[221:222], v[182:183], v[138:139]
	v_mul_f64 v[223:224], v[180:181], v[138:139]
	;; [unrolled: 1-line block ×3, first 2 shown]
	v_fma_f64 v[225:226], v[184:185], v[144:145], -v[225:226]
	v_fma_f64 v[168:169], v[168:169], v[132:133], -v[217:218]
	v_fma_f64 v[170:171], v[170:171], v[132:133], v[219:220]
	s_waitcnt vmcnt(0) lgkmcnt(0)
	v_mul_f64 v[217:218], v[206:207], v[142:143]
	v_mul_f64 v[219:220], v[204:205], v[142:143]
	v_fma_f64 v[221:222], v[180:181], v[136:137], -v[221:222]
	v_fma_f64 v[223:224], v[182:183], v[136:137], v[223:224]
	v_fma_f64 v[227:228], v[186:187], v[144:145], v[227:228]
	v_fma_f64 v[229:230], v[200:201], v[148:149], -v[229:230]
	v_fma_f64 v[231:232], v[202:203], v[148:149], v[231:232]
	v_add_f64 v[180:181], v[156:157], -v[152:153]
	v_add_f64 v[182:183], v[158:159], -v[154:155]
	;; [unrolled: 1-line block ×4, first 2 shown]
	v_fma_f64 v[168:169], v[204:205], v[140:141], -v[217:218]
	v_fma_f64 v[170:171], v[206:207], v[140:141], v[219:220]
	v_add_f64 v[184:185], v[160:161], -v[164:165]
	v_add_f64 v[186:187], v[162:163], -v[166:167]
	;; [unrolled: 1-line block ×4, first 2 shown]
	v_fma_f64 v[204:205], v[156:157], 2.0, -v[180:181]
	v_fma_f64 v[206:207], v[158:159], 2.0, -v[182:183]
	v_add_f64 v[152:153], v[192:193], -v[225:226]
	v_add_f64 v[154:155], v[194:195], -v[227:228]
	;; [unrolled: 1-line block ×6, first 2 shown]
	v_fma_f64 v[217:218], v[160:161], 2.0, -v[184:185]
	v_fma_f64 v[219:220], v[162:163], 2.0, -v[186:187]
	;; [unrolled: 1-line block ×12, first 2 shown]
	ds_write_b128 v211, v[204:207]
	ds_write_b128 v211, v[180:183] offset:7056
	ds_write_b128 v211, v[217:220] offset:1008
	ds_write_b128 v211, v[184:187] offset:8064
	ds_write_b128 v211, v[172:175] offset:2016
	ds_write_b128 v211, v[200:203] offset:9072
	ds_write_b128 v211, v[176:179] offset:3024
	ds_write_b128 v211, v[221:224] offset:10080
	ds_write_b128 v211, v[192:195] offset:4032
	ds_write_b128 v211, v[152:155] offset:11088
	ds_write_b128 v211, v[160:163] offset:5040
	ds_write_b128 v211, v[164:167] offset:12096
	ds_write_b128 v211, v[168:171] offset:6048
	ds_write_b128 v211, v[156:159] offset:13104
	v_add_co_u32_e64 v172, s[0:1], s4, v208
	v_addc_co_u32_e64 v173, s[0:1], 0, v233, s[0:1]
	s_waitcnt lgkmcnt(0)
	; wave barrier
	s_waitcnt lgkmcnt(0)
	global_load_dwordx4 v[174:177], v[172:173], off offset:1824
	s_movk_i32 s0, 0x3720
	v_add_co_u32_e64 v172, s[0:1], s0, v208
	v_addc_co_u32_e64 v173, s[0:1], 0, v233, s[0:1]
	s_movk_i32 s0, 0x4000
	v_add_co_u32_e64 v190, s[0:1], s0, v208
	v_addc_co_u32_e64 v191, s[0:1], 0, v233, s[0:1]
	global_load_dwordx4 v[178:181], v[172:173], off offset:1568
	global_load_dwordx4 v[182:185], v[172:173], off offset:3136
	;; [unrolled: 1-line block ×3, first 2 shown]
	s_nop 0
	global_load_dwordx4 v[190:193], v[190:191], off offset:4000
	s_movk_i32 s0, 0x5000
	v_add_co_u32_e64 v198, s[0:1], s0, v208
	v_addc_co_u32_e64 v199, s[0:1], 0, v233, s[0:1]
	s_movk_i32 s0, 0x6000
	global_load_dwordx4 v[194:197], v[198:199], off offset:1472
	s_nop 0
	global_load_dwordx4 v[198:201], v[198:199], off offset:3040
	v_add_co_u32_e64 v206, s[0:1], s0, v208
	v_addc_co_u32_e64 v207, s[0:1], 0, v233, s[0:1]
	global_load_dwordx4 v[202:205], v[206:207], off offset:512
	global_load_dwordx4 v[217:220], v[206:207], off offset:2080
	ds_read_b128 v[221:224], v211
	s_waitcnt vmcnt(8) lgkmcnt(0)
	v_mul_f64 v[206:207], v[223:224], v[176:177]
	v_mul_f64 v[176:177], v[221:222], v[176:177]
	v_fma_f64 v[221:222], v[221:222], v[174:175], -v[206:207]
	v_fma_f64 v[223:224], v[223:224], v[174:175], v[176:177]
	ds_read_b128 v[174:177], v211 offset:1568
	ds_read_b128 v[225:228], v211 offset:3136
	;; [unrolled: 1-line block ×4, first 2 shown]
	s_waitcnt vmcnt(7) lgkmcnt(3)
	v_mul_f64 v[206:207], v[176:177], v[180:181]
	v_mul_f64 v[180:181], v[174:175], v[180:181]
	s_waitcnt vmcnt(6) lgkmcnt(2)
	v_mul_f64 v[237:238], v[227:228], v[184:185]
	ds_write_b128 v211, v[221:224]
	ds_read_b128 v[221:224], v211 offset:4704
	v_mul_f64 v[184:185], v[225:226], v[184:185]
	s_waitcnt vmcnt(4) lgkmcnt(3)
	v_mul_f64 v[241:242], v[231:232], v[192:193]
	v_mul_f64 v[192:193], v[229:230], v[192:193]
	v_fma_f64 v[174:175], v[174:175], v[178:179], -v[206:207]
	s_waitcnt lgkmcnt(0)
	v_mul_f64 v[239:240], v[223:224], v[188:189]
	v_mul_f64 v[188:189], v[221:222], v[188:189]
	v_fma_f64 v[176:177], v[176:177], v[178:179], v[180:181]
	v_fma_f64 v[178:179], v[225:226], v[182:183], -v[237:238]
	v_fma_f64 v[180:181], v[227:228], v[182:183], v[184:185]
	ds_read_b128 v[225:228], v211 offset:12544
	v_fma_f64 v[182:183], v[221:222], v[186:187], -v[239:240]
	v_fma_f64 v[184:185], v[223:224], v[186:187], v[188:189]
	v_fma_f64 v[186:187], v[229:230], v[190:191], -v[241:242]
	v_fma_f64 v[188:189], v[231:232], v[190:191], v[192:193]
	ds_read_b128 v[190:193], v211 offset:9408
	ds_read_b128 v[221:224], v211 offset:10976
	s_waitcnt vmcnt(3)
	v_mul_f64 v[206:207], v[235:236], v[196:197]
	v_mul_f64 v[196:197], v[233:234], v[196:197]
	s_waitcnt vmcnt(0) lgkmcnt(2)
	v_mul_f64 v[239:240], v[227:228], v[219:220]
	s_waitcnt lgkmcnt(1)
	v_mul_f64 v[229:230], v[192:193], v[200:201]
	v_mul_f64 v[200:201], v[190:191], v[200:201]
	s_waitcnt lgkmcnt(0)
	v_mul_f64 v[231:232], v[223:224], v[204:205]
	v_mul_f64 v[237:238], v[221:222], v[204:205]
	;; [unrolled: 1-line block ×3, first 2 shown]
	v_fma_f64 v[204:205], v[233:234], v[194:195], -v[206:207]
	v_fma_f64 v[206:207], v[235:236], v[194:195], v[196:197]
	v_fma_f64 v[190:191], v[190:191], v[198:199], -v[229:230]
	v_fma_f64 v[192:193], v[192:193], v[198:199], v[200:201]
	;; [unrolled: 2-line block ×4, first 2 shown]
	ds_write_b128 v211, v[174:177] offset:1568
	ds_write_b128 v211, v[178:181] offset:3136
	;; [unrolled: 1-line block ×8, first 2 shown]
	s_and_saveexec_b64 s[2:3], vcc
	s_cbranch_execz .LBB0_9
; %bb.8:
	global_load_dwordx4 v[178:181], v[172:173], off offset:1008
	ds_read_b128 v[174:177], v211 offset:1008
	v_add_co_u32_e64 v186, s[0:1], s12, v172
	v_addc_co_u32_e64 v187, s[0:1], 0, v173, s[0:1]
	s_waitcnt vmcnt(0) lgkmcnt(0)
	v_mul_f64 v[182:183], v[176:177], v[180:181]
	v_fma_f64 v[182:183], v[174:175], v[178:179], -v[182:183]
	v_mul_f64 v[174:175], v[174:175], v[180:181]
	v_fma_f64 v[184:185], v[176:177], v[178:179], v[174:175]
	global_load_dwordx4 v[178:181], v[172:173], off offset:2576
	ds_read_b128 v[174:177], v211 offset:2576
	ds_write_b128 v211, v[182:185] offset:1008
	s_waitcnt vmcnt(0) lgkmcnt(1)
	v_mul_f64 v[182:183], v[176:177], v[180:181]
	v_fma_f64 v[182:183], v[174:175], v[178:179], -v[182:183]
	v_mul_f64 v[174:175], v[174:175], v[180:181]
	v_fma_f64 v[184:185], v[176:177], v[178:179], v[174:175]
	global_load_dwordx4 v[178:181], v[186:187], off offset:48
	ds_read_b128 v[174:177], v211 offset:4144
	ds_write_b128 v211, v[182:185] offset:2576
	;; [unrolled: 8-line block ×3, first 2 shown]
	s_waitcnt vmcnt(0) lgkmcnt(1)
	v_mul_f64 v[182:183], v[176:177], v[180:181]
	v_fma_f64 v[182:183], v[174:175], v[178:179], -v[182:183]
	v_mul_f64 v[174:175], v[174:175], v[180:181]
	v_fma_f64 v[184:185], v[176:177], v[178:179], v[174:175]
	global_load_dwordx4 v[178:181], v[186:187], off offset:3184
	ds_read_b128 v[174:177], v211 offset:7280
	v_add_co_u32_e64 v186, s[0:1], s5, v172
	v_addc_co_u32_e64 v187, s[0:1], 0, v173, s[0:1]
	v_add_co_u32_e64 v172, s[0:1], s4, v172
	ds_write_b128 v211, v[182:185] offset:5712
	v_addc_co_u32_e64 v173, s[0:1], 0, v173, s[0:1]
	s_waitcnt vmcnt(0) lgkmcnt(1)
	v_mul_f64 v[182:183], v[176:177], v[180:181]
	v_fma_f64 v[182:183], v[174:175], v[178:179], -v[182:183]
	v_mul_f64 v[174:175], v[174:175], v[180:181]
	v_fma_f64 v[184:185], v[176:177], v[178:179], v[174:175]
	global_load_dwordx4 v[178:181], v[186:187], off offset:656
	ds_read_b128 v[174:177], v211 offset:8848
	ds_write_b128 v211, v[182:185] offset:7280
	s_waitcnt vmcnt(0) lgkmcnt(1)
	v_mul_f64 v[182:183], v[176:177], v[180:181]
	v_fma_f64 v[182:183], v[174:175], v[178:179], -v[182:183]
	v_mul_f64 v[174:175], v[174:175], v[180:181]
	v_fma_f64 v[184:185], v[176:177], v[178:179], v[174:175]
	global_load_dwordx4 v[178:181], v[186:187], off offset:2224
	ds_read_b128 v[174:177], v211 offset:10416
	ds_write_b128 v211, v[182:185] offset:8848
	;; [unrolled: 8-line block ×4, first 2 shown]
	s_waitcnt vmcnt(0) lgkmcnt(1)
	v_mul_f64 v[172:173], v[176:177], v[180:181]
	v_fma_f64 v[172:173], v[174:175], v[178:179], -v[172:173]
	v_mul_f64 v[174:175], v[174:175], v[180:181]
	v_fma_f64 v[174:175], v[176:177], v[178:179], v[174:175]
	ds_write_b128 v211, v[172:175] offset:13552
.LBB0_9:
	s_or_b64 exec, exec, s[2:3]
	s_waitcnt lgkmcnt(0)
	; wave barrier
	s_waitcnt lgkmcnt(0)
	ds_read_b128 v[172:175], v211
	ds_read_b128 v[200:203], v211 offset:1568
	ds_read_b128 v[192:195], v211 offset:3136
	;; [unrolled: 1-line block ×8, first 2 shown]
	s_and_saveexec_b64 s[0:1], vcc
	s_cbranch_execz .LBB0_11
; %bb.10:
	ds_read_b128 v[152:155], v211 offset:1008
	ds_read_b128 v[160:163], v211 offset:2576
	;; [unrolled: 1-line block ×9, first 2 shown]
.LBB0_11:
	s_or_b64 exec, exec, s[0:1]
	s_waitcnt lgkmcnt(0)
	v_add_f64 v[217:218], v[200:201], -v[204:205]
	v_add_f64 v[219:220], v[202:203], -v[206:207]
	s_mov_b32 s2, 0x523c161c
	s_mov_b32 s3, 0x3fe491b7
	v_add_f64 v[200:201], v[200:201], v[204:205]
	v_add_f64 v[202:203], v[202:203], v[206:207]
	v_add_f64 v[204:205], v[192:193], -v[196:197]
	v_add_f64 v[206:207], v[194:195], -v[198:199]
	v_mul_f64 v[221:222], v[217:218], s[2:3]
	v_mul_f64 v[223:224], v[219:220], s[2:3]
	s_mov_b32 s4, 0x8c811c17
	s_mov_b32 s5, 0x3fef838b
	v_add_f64 v[196:197], v[192:193], v[196:197]
	v_add_f64 v[198:199], v[194:195], v[198:199]
	v_add_f64 v[225:226], v[184:185], -v[188:189]
	v_add_f64 v[227:228], v[186:187], -v[190:191]
	v_fma_f64 v[192:193], v[204:205], s[4:5], v[221:222]
	v_fma_f64 v[194:195], v[206:207], s[4:5], v[223:224]
	s_mov_b32 s0, 0xe8584cab
	s_mov_b32 s16, 0xa2cf5039
	;; [unrolled: 1-line block ×4, first 2 shown]
	v_add_f64 v[221:222], v[184:185], v[188:189]
	v_add_f64 v[223:224], v[186:187], v[190:191]
	v_add_f64 v[229:230], v[180:181], -v[176:177]
	v_add_f64 v[231:232], v[182:183], -v[178:179]
	v_fma_f64 v[184:185], v[225:226], s[0:1], v[192:193]
	v_fma_f64 v[186:187], v[227:228], s[0:1], v[194:195]
	;; [unrolled: 1-line block ×4, first 2 shown]
	v_add_f64 v[233:234], v[180:181], v[176:177]
	v_add_f64 v[235:236], v[182:183], v[178:179]
	s_mov_b32 s12, 0x748a0bf8
	s_mov_b32 s14, 0x7e0b738b
	;; [unrolled: 1-line block ×6, first 2 shown]
	v_fma_f64 v[192:193], v[229:230], s[12:13], v[184:185]
	v_fma_f64 v[194:195], v[231:232], s[12:13], v[186:187]
	v_fma_f64 v[184:185], v[196:197], s[14:15], v[188:189]
	v_fma_f64 v[186:187], v[198:199], s[14:15], v[190:191]
	v_mul_f64 v[188:189], v[229:230], s[22:23]
	v_mul_f64 v[190:191], v[231:232], s[22:23]
	v_fma_f64 v[237:238], v[233:234], s[16:17], v[172:173]
	v_fma_f64 v[239:240], v[235:236], s[16:17], v[174:175]
	s_mov_b32 s18, 0x42522d1b
	s_mov_b32 s19, 0xbfee11f6
	v_fma_f64 v[184:185], v[221:222], -0.5, v[184:185]
	v_fma_f64 v[186:187], v[223:224], -0.5, v[186:187]
	v_fma_f64 v[188:189], v[217:218], s[4:5], v[188:189]
	v_fma_f64 v[190:191], v[219:220], s[4:5], v[190:191]
	;; [unrolled: 1-line block ×4, first 2 shown]
	s_mov_b32 s21, 0xbfebb67a
	s_mov_b32 s20, s0
	v_fma_f64 v[184:185], v[233:234], s[18:19], v[184:185]
	v_fma_f64 v[186:187], v[235:236], s[18:19], v[186:187]
	;; [unrolled: 1-line block ×4, first 2 shown]
	v_fma_f64 v[237:238], v[221:222], -0.5, v[237:238]
	v_fma_f64 v[239:240], v[223:224], -0.5, v[239:240]
	v_add_f64 v[245:246], v[229:230], v[217:218]
	v_add_f64 v[247:248], v[231:232], v[219:220]
	v_add_f64 v[184:185], v[184:185], -v[194:195]
	v_add_f64 v[186:187], v[192:193], v[186:187]
	v_fma_f64 v[241:242], v[204:205], s[12:13], v[188:189]
	v_fma_f64 v[243:244], v[206:207], s[12:13], v[190:191]
	;; [unrolled: 1-line block ×4, first 2 shown]
	v_mul_f64 v[229:230], v[229:230], s[4:5]
	v_mul_f64 v[231:232], v[231:232], s[4:5]
	v_fma_f64 v[188:189], v[194:195], 2.0, v[184:185]
	v_fma_f64 v[190:191], v[192:193], -2.0, v[186:187]
	v_add_f64 v[249:250], v[172:173], v[221:222]
	v_add_f64 v[251:252], v[174:175], v[223:224]
	v_add_f64 v[192:193], v[237:238], -v[243:244]
	v_add_f64 v[194:195], v[241:242], v[239:240]
	v_add_f64 v[237:238], v[245:246], -v[204:205]
	v_add_f64 v[239:240], v[247:248], -v[206:207]
	v_fma_f64 v[245:246], v[196:197], s[16:17], v[172:173]
	v_fma_f64 v[247:248], v[198:199], s[16:17], v[174:175]
	v_add_f64 v[196:197], v[196:197], v[200:201]
	v_add_f64 v[198:199], v[198:199], v[202:203]
	v_fma_f64 v[204:205], v[204:205], s[22:23], -v[229:230]
	v_fma_f64 v[206:207], v[206:207], s[22:23], -v[231:232]
	s_waitcnt lgkmcnt(0)
	; wave barrier
	v_fma_f64 v[229:230], v[233:234], s[14:15], v[245:246]
	v_fma_f64 v[231:232], v[235:236], s[14:15], v[247:248]
	v_add_f64 v[233:234], v[233:234], v[196:197]
	v_add_f64 v[196:197], v[221:222], v[196:197]
	;; [unrolled: 1-line block ×4, first 2 shown]
	v_fma_f64 v[204:205], v[225:226], s[0:1], v[204:205]
	v_fma_f64 v[206:207], v[227:228], s[0:1], v[206:207]
	v_fma_f64 v[221:222], v[221:222], -0.5, v[229:230]
	v_fma_f64 v[223:224], v[223:224], -0.5, v[231:232]
	;; [unrolled: 1-line block ×3, first 2 shown]
	v_add_f64 v[180:181], v[180:181], v[196:197]
	v_add_f64 v[182:183], v[182:183], v[245:246]
	v_fma_f64 v[196:197], v[198:199], -0.5, v[251:252]
	v_fma_f64 v[217:218], v[217:218], s[12:13], v[204:205]
	v_fma_f64 v[204:205], v[219:220], s[12:13], v[206:207]
	;; [unrolled: 1-line block ×4, first 2 shown]
	v_mul_f64 v[202:203], v[237:238], s[0:1]
	v_add_f64 v[206:207], v[176:177], v[180:181]
	v_add_f64 v[219:220], v[178:179], v[182:183]
	v_mul_f64 v[221:222], v[239:240], s[0:1]
	v_fma_f64 v[176:177], v[239:240], s[20:21], v[225:226]
	v_fma_f64 v[178:179], v[237:238], s[0:1], v[196:197]
	v_add_f64 v[180:181], v[198:199], -v[204:205]
	v_add_f64 v[182:183], v[217:218], v[200:201]
	v_fma_f64 v[196:197], v[243:244], 2.0, v[192:193]
	v_add_f64 v[172:173], v[172:173], v[206:207]
	v_add_f64 v[174:175], v[174:175], v[219:220]
	v_fma_f64 v[198:199], v[241:242], -2.0, v[194:195]
	v_fma_f64 v[200:201], v[221:222], 2.0, v[176:177]
	v_fma_f64 v[202:203], v[202:203], -2.0, v[178:179]
	v_fma_f64 v[204:205], v[204:205], 2.0, v[180:181]
	v_fma_f64 v[206:207], v[217:218], -2.0, v[182:183]
	ds_write_b128 v214, v[172:175]
	ds_write_b128 v214, v[184:187] offset:16
	ds_write_b128 v214, v[192:195] offset:32
	;; [unrolled: 1-line block ×8, first 2 shown]
	s_and_saveexec_b64 s[24:25], vcc
	s_cbranch_execz .LBB0_13
; %bb.12:
	v_add_f64 v[172:173], v[156:157], -v[76:77]
	v_add_f64 v[174:175], v[166:167], v[102:103]
	v_add_f64 v[178:179], v[158:159], -v[78:79]
	v_add_f64 v[180:181], v[164:165], v[100:101]
	;; [unrolled: 2-line block ×4, first 2 shown]
	v_mul_f64 v[166:167], v[172:173], s[4:5]
	v_fma_f64 v[182:183], v[174:175], s[16:17], v[154:155]
	v_mul_f64 v[186:187], v[178:179], s[4:5]
	v_fma_f64 v[188:189], v[180:181], s[16:17], v[152:153]
	v_add_f64 v[176:177], v[168:169], -v[92:93]
	v_add_f64 v[190:191], v[170:171], v[94:95]
	v_add_f64 v[192:193], v[162:163], v[98:99]
	v_add_f64 v[170:171], v[170:171], -v[94:95]
	v_fma_f64 v[94:95], v[100:101], s[22:23], -v[166:167]
	v_fma_f64 v[166:167], v[164:165], s[14:15], v[182:183]
	v_add_f64 v[168:169], v[168:169], v[92:93]
	v_fma_f64 v[92:93], v[102:103], s[22:23], -v[186:187]
	v_fma_f64 v[182:183], v[184:185], s[14:15], v[188:189]
	v_add_f64 v[186:187], v[160:161], v[96:97]
	v_add_f64 v[160:161], v[160:161], -v[96:97]
	v_add_f64 v[96:97], v[174:175], v[192:193]
	v_fma_f64 v[94:95], v[176:177], s[0:1], v[94:95]
	v_fma_f64 v[166:167], v[190:191], -0.5, v[166:167]
	v_add_f64 v[162:163], v[162:163], -v[98:99]
	v_fma_f64 v[92:93], v[170:171], s[0:1], v[92:93]
	v_fma_f64 v[98:99], v[168:169], -0.5, v[182:183]
	v_add_f64 v[182:183], v[180:181], v[186:187]
	v_add_f64 v[196:197], v[172:173], v[160:161]
	;; [unrolled: 1-line block ×3, first 2 shown]
	v_fma_f64 v[194:195], v[160:161], s[12:13], v[94:95]
	v_fma_f64 v[94:95], v[192:193], s[18:19], v[166:167]
	v_add_f64 v[198:199], v[154:155], v[190:191]
	v_fma_f64 v[166:167], v[162:163], s[12:13], v[92:93]
	v_fma_f64 v[92:93], v[186:187], s[18:19], v[98:99]
	v_add_f64 v[98:99], v[168:169], v[182:183]
	v_add_f64 v[200:201], v[164:165], v[96:97]
	;; [unrolled: 1-line block ×7, first 2 shown]
	v_add_f64 v[92:93], v[92:93], -v[166:167]
	v_add_f64 v[156:157], v[156:157], v[98:99]
	v_mul_f64 v[206:207], v[162:163], s[2:3]
	v_add_f64 v[204:205], v[78:79], v[158:159]
	v_fma_f64 v[78:79], v[200:201], -0.5, v[198:199]
	v_fma_f64 v[98:99], v[194:195], -2.0, v[94:95]
	v_fma_f64 v[194:195], v[184:185], s[16:17], v[152:153]
	v_mul_f64 v[198:199], v[160:161], s[2:3]
	v_fma_f64 v[96:97], v[166:167], 2.0, v[92:93]
	v_add_f64 v[166:167], v[76:77], v[156:157]
	v_add_f64 v[76:77], v[196:197], -v[100:101]
	v_fma_f64 v[156:157], v[182:183], -0.5, v[188:189]
	v_mul_f64 v[182:183], v[172:173], s[22:23]
	v_fma_f64 v[188:189], v[164:165], s[16:17], v[154:155]
	v_mul_f64 v[196:197], v[178:179], s[22:23]
	v_fma_f64 v[200:201], v[192:193], s[16:17], v[154:155]
	v_add_f64 v[158:159], v[202:203], -v[102:103]
	v_fma_f64 v[202:203], v[186:187], s[16:17], v[152:153]
	v_fma_f64 v[186:187], v[186:187], s[14:15], v[194:195]
	;; [unrolled: 1-line block ×10, first 2 shown]
	v_fma_f64 v[186:187], v[168:169], -0.5, v[186:187]
	v_fma_f64 v[160:161], v[176:177], s[20:21], v[160:161]
	v_fma_f64 v[182:183], v[190:191], -0.5, v[182:183]
	v_fma_f64 v[162:163], v[170:171], s[20:21], v[162:163]
	v_fma_f64 v[176:177], v[176:177], s[0:1], v[188:189]
	v_fma_f64 v[188:189], v[190:191], -0.5, v[192:193]
	v_fma_f64 v[168:169], v[168:169], -0.5, v[194:195]
	v_fma_f64 v[170:171], v[170:171], s[0:1], v[196:197]
	v_add_f64 v[154:155], v[154:155], v[204:205]
	v_fma_f64 v[190:191], v[100:101], s[12:13], v[160:161]
	v_fma_f64 v[100:101], v[174:175], s[18:19], v[182:183]
	;; [unrolled: 1-line block ×8, first 2 shown]
	v_mul_f64 v[170:171], v[76:77], s[0:1]
	v_mul_f64 v[176:177], v[158:159], s[0:1]
	v_fma_f64 v[76:77], v[158:159], s[20:21], v[156:157]
	v_add_f64 v[102:103], v[190:191], v[100:101]
	v_add_f64 v[100:101], v[160:161], -v[174:175]
	v_add_f64 v[158:159], v[172:173], v[162:163]
	v_add_f64 v[152:153], v[152:153], v[166:167]
	v_add_f64 v[156:157], v[164:165], -v[168:169]
	v_fma_f64 v[162:163], v[170:171], -2.0, v[78:79]
	v_fma_f64 v[160:161], v[176:177], 2.0, v[76:77]
	v_fma_f64 v[166:167], v[190:191], -2.0, v[102:103]
	v_fma_f64 v[164:165], v[174:175], 2.0, v[100:101]
	v_fma_f64 v[170:171], v[172:173], -2.0, v[158:159]
	v_lshlrev_b32_e32 v172, 4, v213
	v_fma_f64 v[168:169], v[168:169], 2.0, v[156:157]
	ds_write_b128 v172, v[152:155]
	ds_write_b128 v172, v[156:159] offset:16
	ds_write_b128 v172, v[100:103] offset:32
	;; [unrolled: 1-line block ×8, first 2 shown]
.LBB0_13:
	s_or_b64 exec, exec, s[24:25]
	s_waitcnt lgkmcnt(0)
	; wave barrier
	s_waitcnt lgkmcnt(0)
	ds_read_b128 v[76:79], v211
	ds_read_b128 v[92:95], v211 offset:1008
	ds_read_b128 v[96:99], v211 offset:2016
	ds_read_b128 v[100:103], v211 offset:3024
	ds_read_b128 v[152:155], v211 offset:4032
	ds_read_b128 v[156:159], v211 offset:5040
	ds_read_b128 v[160:163], v211 offset:6048
	ds_read_b128 v[164:167], v211 offset:7056
	ds_read_b128 v[168:171], v211 offset:8064
	ds_read_b128 v[172:175], v211 offset:9072
	ds_read_b128 v[176:179], v211 offset:10080
	ds_read_b128 v[180:183], v211 offset:11088
	s_waitcnt lgkmcnt(9)
	v_mul_f64 v[192:193], v[54:55], v[98:99]
	v_mul_f64 v[54:55], v[54:55], v[96:97]
	s_waitcnt lgkmcnt(7)
	v_mul_f64 v[194:195], v[46:47], v[154:155]
	v_mul_f64 v[46:47], v[46:47], v[152:153]
	;; [unrolled: 3-line block ×3, first 2 shown]
	ds_read_b128 v[184:187], v211 offset:12096
	ds_read_b128 v[188:191], v211 offset:13104
	s_mov_b32 s2, 0x37e14327
	v_fma_f64 v[96:97], v[52:53], v[96:97], v[192:193]
	v_fma_f64 v[52:53], v[52:53], v[98:99], -v[54:55]
	v_fma_f64 v[54:55], v[44:45], v[152:153], v[194:195]
	v_fma_f64 v[44:45], v[44:45], v[154:155], -v[46:47]
	;; [unrolled: 2-line block ×3, first 2 shown]
	s_waitcnt lgkmcnt(5)
	v_mul_f64 v[50:51], v[42:43], v[170:171]
	v_mul_f64 v[42:43], v[42:43], v[168:169]
	s_waitcnt lgkmcnt(3)
	v_mul_f64 v[98:99], v[62:63], v[178:179]
	v_mul_f64 v[62:63], v[62:63], v[176:177]
	;; [unrolled: 3-line block ×3, first 2 shown]
	v_mul_f64 v[154:155], v[82:83], v[102:103]
	v_mul_f64 v[82:83], v[82:83], v[100:101]
	v_fma_f64 v[50:51], v[40:41], v[168:169], v[50:51]
	v_fma_f64 v[40:41], v[40:41], v[170:171], -v[42:43]
	v_fma_f64 v[42:43], v[60:61], v[176:177], v[98:99]
	v_fma_f64 v[60:61], v[60:61], v[178:179], -v[62:63]
	;; [unrolled: 2-line block ×4, first 2 shown]
	v_mul_f64 v[58:59], v[74:75], v[158:159]
	v_mul_f64 v[74:75], v[74:75], v[156:157]
	;; [unrolled: 1-line block ×8, first 2 shown]
	v_fma_f64 v[152:153], v[72:73], v[156:157], v[58:59]
	v_fma_f64 v[72:73], v[72:73], v[158:159], -v[74:75]
	v_fma_f64 v[74:75], v[68:69], v[164:165], v[82:83]
	v_fma_f64 v[68:69], v[68:69], v[166:167], -v[70:71]
	;; [unrolled: 2-line block ×4, first 2 shown]
	s_waitcnt lgkmcnt(0)
	v_mul_f64 v[58:59], v[38:39], v[190:191]
	v_mul_f64 v[84:85], v[38:39], v[188:189]
	v_add_f64 v[38:39], v[96:97], v[62:63]
	v_add_f64 v[86:87], v[52:53], v[56:57]
	v_add_f64 v[62:63], v[96:97], -v[62:63]
	v_add_f64 v[52:53], v[52:53], -v[56:57]
	v_add_f64 v[56:57], v[54:55], v[42:43]
	v_add_f64 v[96:97], v[44:45], v[60:61]
	v_add_f64 v[42:43], v[54:55], -v[42:43]
	v_add_f64 v[44:45], v[44:45], -v[60:61]
	;; [unrolled: 4-line block ×4, first 2 shown]
	v_add_f64 v[154:155], v[38:39], -v[54:55]
	v_add_f64 v[86:87], v[86:87], -v[60:61]
	;; [unrolled: 1-line block ×4, first 2 shown]
	v_add_f64 v[38:39], v[46:47], v[42:43]
	v_add_f64 v[156:157], v[40:41], v[44:45]
	v_add_f64 v[158:159], v[46:47], -v[42:43]
	v_add_f64 v[160:161], v[40:41], -v[44:45]
	v_add_f64 v[48:49], v[54:55], v[48:49]
	v_add_f64 v[50:51], v[60:61], v[50:51]
	v_add_f64 v[42:43], v[42:43], -v[62:63]
	v_add_f64 v[44:45], v[44:45], -v[52:53]
	s_mov_b32 s0, 0x36b3c0b5
	s_mov_b32 s12, 0xe976ee23
	;; [unrolled: 1-line block ×7, first 2 shown]
	v_add_f64 v[46:47], v[62:63], -v[46:47]
	v_add_f64 v[54:55], v[52:53], -v[40:41]
	v_add_f64 v[60:61], v[38:39], v[62:63]
	v_add_f64 v[52:53], v[156:157], v[52:53]
	;; [unrolled: 1-line block ×4, first 2 shown]
	v_mul_f64 v[62:63], v[154:155], s[2:3]
	v_mul_f64 v[76:77], v[86:87], s[2:3]
	;; [unrolled: 1-line block ×8, first 2 shown]
	s_mov_b32 s14, 0xaaaaaaaa
	s_mov_b32 s16, 0x5476071b
	;; [unrolled: 1-line block ×10, first 2 shown]
	v_fma_f64 v[48:49], v[48:49], s[14:15], v[38:39]
	v_fma_f64 v[50:51], v[50:51], s[14:15], v[40:41]
	;; [unrolled: 1-line block ×4, first 2 shown]
	v_fma_f64 v[78:79], v[100:101], s[16:17], -v[78:79]
	v_fma_f64 v[86:87], v[102:103], s[16:17], -v[86:87]
	;; [unrolled: 1-line block ×4, first 2 shown]
	v_fma_f64 v[100:101], v[46:47], s[20:21], v[154:155]
	v_fma_f64 v[102:103], v[54:55], s[20:21], v[156:157]
	v_fma_f64 v[42:43], v[42:43], s[4:5], -v[154:155]
	v_fma_f64 v[44:45], v[44:45], s[4:5], -v[156:157]
	;; [unrolled: 1-line block ×4, first 2 shown]
	s_mov_b32 s22, 0x37c3f68c
	s_mov_b32 s23, 0xbfdc38aa
	v_add_f64 v[154:155], v[56:57], v[48:49]
	v_add_f64 v[56:57], v[78:79], v[48:49]
	;; [unrolled: 1-line block ×5, first 2 shown]
	v_fma_f64 v[86:87], v[52:53], s[22:23], v[102:103]
	v_fma_f64 v[100:101], v[60:61], s[22:23], v[100:101]
	;; [unrolled: 1-line block ×7, first 2 shown]
	v_fma_f64 v[36:37], v[36:37], v[190:191], -v[84:85]
	v_add_f64 v[96:97], v[96:97], v[50:51]
	v_add_f64 v[84:85], v[72:73], v[82:83]
	;; [unrolled: 1-line block ×3, first 2 shown]
	v_add_f64 v[48:49], v[76:77], -v[156:157]
	v_add_f64 v[50:51], v[56:57], -v[54:55]
	v_add_f64 v[52:53], v[60:61], v[78:79]
	v_add_f64 v[54:55], v[54:55], v[56:57]
	v_add_f64 v[56:57], v[78:79], -v[60:61]
	v_add_f64 v[58:59], v[62:63], -v[102:103]
	v_add_f64 v[60:61], v[156:157], v[76:77]
	v_add_f64 v[62:63], v[98:99], v[158:159]
	;; [unrolled: 1-line block ×3, first 2 shown]
	v_add_f64 v[36:37], v[80:81], -v[36:37]
	v_add_f64 v[80:81], v[152:153], v[66:67]
	v_add_f64 v[78:79], v[98:99], -v[158:159]
	v_add_f64 v[66:67], v[152:153], -v[66:67]
	v_add_f64 v[72:73], v[72:73], -v[82:83]
	v_add_f64 v[82:83], v[74:75], v[70:71]
	v_add_f64 v[98:99], v[68:69], v[64:65]
	v_add_f64 v[70:71], v[70:71], -v[74:75]
	v_add_f64 v[64:65], v[64:65], -v[68:69]
	v_add_f64 v[68:69], v[80:81], v[62:63]
	v_add_f64 v[74:75], v[84:85], v[76:77]
	v_add_f64 v[102:103], v[80:81], -v[62:63]
	v_add_f64 v[152:153], v[84:85], -v[76:77]
	;; [unrolled: 1-line block ×6, first 2 shown]
	v_add_f64 v[62:63], v[70:71], v[66:67]
	v_add_f64 v[158:159], v[64:65], v[72:73]
	v_add_f64 v[160:161], v[70:71], -v[66:67]
	v_add_f64 v[162:163], v[64:65], -v[72:73]
	v_add_f64 v[68:69], v[82:83], v[68:69]
	v_add_f64 v[74:75], v[98:99], v[74:75]
	v_add_f64 v[66:67], v[66:67], -v[78:79]
	v_add_f64 v[72:73], v[72:73], -v[36:37]
	;; [unrolled: 1-line block ×4, first 2 shown]
	v_add_f64 v[78:79], v[62:63], v[78:79]
	v_add_f64 v[36:37], v[158:159], v[36:37]
	;; [unrolled: 1-line block ×4, first 2 shown]
	v_mul_f64 v[92:93], v[156:157], s[2:3]
	v_mul_f64 v[76:77], v[76:77], s[2:3]
	;; [unrolled: 1-line block ×8, first 2 shown]
	v_fma_f64 v[68:69], v[68:69], s[14:15], v[62:63]
	v_fma_f64 v[74:75], v[74:75], s[14:15], v[64:65]
	;; [unrolled: 1-line block ×4, first 2 shown]
	v_fma_f64 v[94:95], v[102:103], s[16:17], -v[94:95]
	v_fma_f64 v[98:99], v[152:153], s[16:17], -v[98:99]
	;; [unrolled: 1-line block ×4, first 2 shown]
	v_fma_f64 v[102:103], v[70:71], s[20:21], v[156:157]
	v_fma_f64 v[152:153], v[82:83], s[20:21], v[158:159]
	v_fma_f64 v[66:67], v[66:67], s[4:5], -v[156:157]
	v_fma_f64 v[72:73], v[72:73], s[4:5], -v[158:159]
	;; [unrolled: 1-line block ×4, first 2 shown]
	v_add_f64 v[156:157], v[80:81], v[68:69]
	v_add_f64 v[158:159], v[84:85], v[74:75]
	;; [unrolled: 1-line block ×6, first 2 shown]
	v_fma_f64 v[152:153], v[36:37], s[22:23], v[152:153]
	v_fma_f64 v[102:103], v[78:79], s[22:23], v[102:103]
	;; [unrolled: 1-line block ×6, first 2 shown]
	v_add_f64 v[42:43], v[86:87], v[154:155]
	v_add_f64 v[44:45], v[96:97], -v[100:101]
	v_add_f64 v[66:67], v[154:155], -v[86:87]
	v_add_f64 v[68:69], v[100:101], v[96:97]
	v_add_f64 v[70:71], v[152:153], v[156:157]
	v_add_f64 v[72:73], v[158:159], -v[102:103]
	v_add_f64 v[74:75], v[160:161], v[92:93]
	v_add_f64 v[76:77], v[98:99], -v[162:163]
	v_add_f64 v[78:79], v[84:85], -v[36:37]
	v_add_f64 v[80:81], v[164:165], v[94:95]
	v_add_f64 v[82:83], v[36:37], v[84:85]
	v_add_f64 v[84:85], v[94:95], -v[164:165]
	v_add_f64 v[94:95], v[162:163], v[98:99]
	v_add_f64 v[96:97], v[156:157], -v[152:153]
	;; [unrolled: 2-line block ×3, first 2 shown]
	s_waitcnt lgkmcnt(0)
	; wave barrier
	ds_write_b128 v215, v[38:41]
	ds_write_b128 v215, v[42:45] offset:144
	ds_write_b128 v215, v[46:49] offset:288
	;; [unrolled: 1-line block ×6, first 2 shown]
	ds_write_b128 v216, v[62:65]
	ds_write_b128 v216, v[70:73] offset:144
	ds_write_b128 v216, v[74:77] offset:288
	;; [unrolled: 1-line block ×6, first 2 shown]
	s_waitcnt lgkmcnt(0)
	; wave barrier
	s_waitcnt lgkmcnt(0)
	ds_read_b128 v[36:39], v211
	ds_read_b128 v[40:43], v211 offset:1008
	ds_read_b128 v[44:47], v211 offset:2016
	;; [unrolled: 1-line block ×11, first 2 shown]
	s_waitcnt lgkmcnt(9)
	v_mul_f64 v[96:97], v[118:119], v[46:47]
	v_mul_f64 v[98:99], v[118:119], v[44:45]
	s_waitcnt lgkmcnt(7)
	v_mul_f64 v[100:101], v[114:115], v[54:55]
	v_mul_f64 v[102:103], v[114:115], v[52:53]
	s_waitcnt lgkmcnt(5)
	v_mul_f64 v[152:153], v[110:111], v[62:63]
	v_mul_f64 v[154:155], v[110:111], v[60:61]
	ds_read_b128 v[84:87], v211 offset:12096
	ds_read_b128 v[92:95], v211 offset:13104
	v_mul_f64 v[156:157], v[118:119], v[50:51]
	v_fma_f64 v[44:45], v[116:117], v[44:45], v[96:97]
	v_fma_f64 v[46:47], v[116:117], v[46:47], -v[98:99]
	v_fma_f64 v[52:53], v[112:113], v[52:53], v[100:101]
	v_fma_f64 v[54:55], v[112:113], v[54:55], -v[102:103]
	;; [unrolled: 2-line block ×3, first 2 shown]
	s_waitcnt lgkmcnt(5)
	v_mul_f64 v[96:97], v[106:107], v[70:71]
	v_mul_f64 v[98:99], v[106:107], v[68:69]
	s_waitcnt lgkmcnt(3)
	v_mul_f64 v[100:101], v[122:123], v[78:79]
	v_mul_f64 v[102:103], v[122:123], v[76:77]
	;; [unrolled: 3-line block ×3, first 2 shown]
	v_mul_f64 v[118:119], v[118:119], v[48:49]
	s_waitcnt lgkmcnt(0)
	v_fma_f64 v[68:69], v[104:105], v[68:69], v[96:97]
	v_fma_f64 v[70:71], v[104:105], v[70:71], -v[98:99]
	v_fma_f64 v[76:77], v[120:121], v[76:77], v[100:101]
	v_fma_f64 v[78:79], v[120:121], v[78:79], -v[102:103]
	;; [unrolled: 2-line block ×4, first 2 shown]
	v_mul_f64 v[48:49], v[114:115], v[58:59]
	v_mul_f64 v[50:51], v[114:115], v[56:57]
	v_mul_f64 v[100:101], v[110:111], v[66:67]
	v_mul_f64 v[102:103], v[110:111], v[64:65]
	v_mul_f64 v[110:111], v[106:107], v[74:75]
	v_mul_f64 v[106:107], v[106:107], v[72:73]
	v_mul_f64 v[114:115], v[122:123], v[82:83]
	v_mul_f64 v[116:117], v[122:123], v[80:81]
	v_fma_f64 v[118:119], v[112:113], v[56:57], v[48:49]
	v_fma_f64 v[112:113], v[112:113], v[58:59], -v[50:51]
	v_add_f64 v[56:57], v[44:45], v[84:85]
	v_add_f64 v[58:59], v[46:47], v[86:87]
	v_add_f64 v[44:45], v[44:45], -v[84:85]
	v_add_f64 v[46:47], v[46:47], -v[86:87]
	v_add_f64 v[84:85], v[52:53], v[76:77]
	v_add_f64 v[86:87], v[54:55], v[78:79]
	v_add_f64 v[52:53], v[52:53], -v[76:77]
	v_add_f64 v[54:55], v[54:55], -v[78:79]
	;; [unrolled: 4-line block ×3, first 2 shown]
	v_add_f64 v[68:69], v[84:85], v[56:57]
	v_add_f64 v[70:71], v[86:87], v[58:59]
	v_fma_f64 v[64:65], v[108:109], v[64:65], v[100:101]
	v_fma_f64 v[66:67], v[108:109], v[66:67], -v[102:103]
	v_fma_f64 v[72:73], v[104:105], v[72:73], v[110:111]
	v_fma_f64 v[74:75], v[104:105], v[74:75], -v[106:107]
	v_mul_f64 v[48:49], v[90:91], v[94:95]
	v_mul_f64 v[50:51], v[90:91], v[92:93]
	v_add_f64 v[90:91], v[84:85], -v[56:57]
	v_add_f64 v[100:101], v[86:87], -v[58:59]
	;; [unrolled: 1-line block ×6, first 2 shown]
	v_add_f64 v[102:103], v[60:61], v[52:53]
	v_add_f64 v[104:105], v[62:63], v[54:55]
	v_add_f64 v[106:107], v[60:61], -v[52:53]
	v_add_f64 v[108:109], v[62:63], -v[54:55]
	v_add_f64 v[68:69], v[76:77], v[68:69]
	v_add_f64 v[70:71], v[78:79], v[70:71]
	v_add_f64 v[52:53], v[52:53], -v[44:45]
	v_add_f64 v[54:55], v[54:55], -v[46:47]
	;; [unrolled: 1-line block ×4, first 2 shown]
	v_add_f64 v[44:45], v[102:103], v[44:45]
	v_add_f64 v[46:47], v[104:105], v[46:47]
	;; [unrolled: 1-line block ×4, first 2 shown]
	v_mul_f64 v[56:57], v[56:57], s[2:3]
	v_mul_f64 v[58:59], v[58:59], s[2:3]
	;; [unrolled: 1-line block ×8, first 2 shown]
	v_fma_f64 v[68:69], v[68:69], s[14:15], v[36:37]
	v_fma_f64 v[70:71], v[70:71], s[14:15], v[38:39]
	;; [unrolled: 1-line block ×4, first 2 shown]
	v_fma_f64 v[76:77], v[90:91], s[16:17], -v[76:77]
	v_fma_f64 v[78:79], v[100:101], s[16:17], -v[78:79]
	;; [unrolled: 1-line block ×4, first 2 shown]
	v_fma_f64 v[90:91], v[60:61], s[20:21], v[102:103]
	v_fma_f64 v[100:101], v[62:63], s[20:21], v[104:105]
	v_fma_f64 v[52:53], v[52:53], s[4:5], -v[102:103]
	v_fma_f64 v[54:55], v[54:55], s[4:5], -v[104:105]
	;; [unrolled: 1-line block ×4, first 2 shown]
	v_fma_f64 v[80:81], v[120:121], v[80:81], v[114:115]
	v_fma_f64 v[82:83], v[120:121], v[82:83], -v[116:117]
	v_add_f64 v[84:85], v[84:85], v[68:69]
	v_add_f64 v[86:87], v[86:87], v[70:71]
	;; [unrolled: 1-line block ×6, first 2 shown]
	v_fma_f64 v[62:63], v[46:47], s[22:23], v[62:63]
	v_fma_f64 v[102:103], v[44:45], s[22:23], v[60:61]
	;; [unrolled: 1-line block ×5, first 2 shown]
	v_fma_f64 v[88:89], v[88:89], v[94:95], -v[50:51]
	v_add_f64 v[94:95], v[64:65], v[72:73]
	v_add_f64 v[64:65], v[72:73], -v[64:65]
	v_add_f64 v[48:49], v[62:63], v[68:69]
	v_add_f64 v[50:51], v[70:71], -v[102:103]
	v_add_f64 v[52:53], v[76:77], -v[56:57]
	v_add_f64 v[54:55], v[58:59], v[78:79]
	v_add_f64 v[56:57], v[56:57], v[76:77]
	v_add_f64 v[58:59], v[78:79], -v[58:59]
	v_add_f64 v[60:61], v[68:69], -v[62:63]
	v_add_f64 v[62:63], v[102:103], v[70:71]
	v_add_f64 v[68:69], v[96:97], v[92:93]
	;; [unrolled: 1-line block ×3, first 2 shown]
	v_add_f64 v[76:77], v[96:97], -v[92:93]
	v_add_f64 v[78:79], v[98:99], -v[88:89]
	v_add_f64 v[88:89], v[118:119], v[80:81]
	v_add_f64 v[92:93], v[112:113], v[82:83]
	v_add_f64 v[80:81], v[118:119], -v[80:81]
	v_add_f64 v[82:83], v[112:113], -v[82:83]
	v_add_f64 v[96:97], v[66:67], v[74:75]
	v_add_f64 v[66:67], v[74:75], -v[66:67]
	v_fma_f64 v[100:101], v[46:47], s[22:23], v[100:101]
	v_fma_f64 v[90:91], v[44:45], s[22:23], v[90:91]
	v_add_f64 v[72:73], v[88:89], v[68:69]
	v_add_f64 v[74:75], v[92:93], v[70:71]
	v_add_f64 v[98:99], v[88:89], -v[68:69]
	v_add_f64 v[102:103], v[92:93], -v[70:71]
	;; [unrolled: 1-line block ×6, first 2 shown]
	v_add_f64 v[104:105], v[64:65], v[80:81]
	v_add_f64 v[106:107], v[66:67], v[82:83]
	v_add_f64 v[108:109], v[64:65], -v[80:81]
	v_add_f64 v[110:111], v[66:67], -v[82:83]
	v_add_f64 v[72:73], v[94:95], v[72:73]
	v_add_f64 v[74:75], v[96:97], v[74:75]
	v_add_f64 v[80:81], v[80:81], -v[76:77]
	v_add_f64 v[82:83], v[82:83], -v[78:79]
	v_add_f64 v[64:65], v[76:77], -v[64:65]
	v_add_f64 v[66:67], v[78:79], -v[66:67]
	v_add_f64 v[76:77], v[104:105], v[76:77]
	v_add_f64 v[78:79], v[106:107], v[78:79]
	;; [unrolled: 1-line block ×4, first 2 shown]
	v_mul_f64 v[68:69], v[68:69], s[2:3]
	v_mul_f64 v[70:71], v[70:71], s[2:3]
	;; [unrolled: 1-line block ×8, first 2 shown]
	v_fma_f64 v[72:73], v[72:73], s[14:15], v[40:41]
	v_fma_f64 v[74:75], v[74:75], s[14:15], v[42:43]
	;; [unrolled: 1-line block ×4, first 2 shown]
	v_fma_f64 v[94:95], v[98:99], s[16:17], -v[94:95]
	v_fma_f64 v[96:97], v[102:103], s[16:17], -v[96:97]
	;; [unrolled: 1-line block ×4, first 2 shown]
	v_fma_f64 v[98:99], v[64:65], s[20:21], v[104:105]
	v_fma_f64 v[102:103], v[66:67], s[20:21], v[106:107]
	v_fma_f64 v[64:65], v[64:65], s[24:25], -v[108:109]
	v_fma_f64 v[66:67], v[66:67], s[24:25], -v[110:111]
	;; [unrolled: 1-line block ×4, first 2 shown]
	v_add_f64 v[88:89], v[88:89], v[72:73]
	v_add_f64 v[92:93], v[92:93], v[74:75]
	;; [unrolled: 1-line block ×4, first 2 shown]
	v_fma_f64 v[102:103], v[78:79], s[22:23], v[102:103]
	v_fma_f64 v[98:99], v[76:77], s[22:23], v[98:99]
	;; [unrolled: 1-line block ×4, first 2 shown]
	v_add_f64 v[94:95], v[94:95], v[72:73]
	v_add_f64 v[96:97], v[96:97], v[74:75]
	v_fma_f64 v[82:83], v[78:79], s[22:23], v[82:83]
	v_fma_f64 v[112:113], v[76:77], s[22:23], v[80:81]
	v_add_f64 v[44:45], v[100:101], v[84:85]
	v_add_f64 v[46:47], v[86:87], -v[90:91]
	v_add_f64 v[64:65], v[84:85], -v[100:101]
	v_add_f64 v[66:67], v[90:91], v[86:87]
	v_add_f64 v[68:69], v[102:103], v[88:89]
	v_add_f64 v[70:71], v[92:93], -v[98:99]
	v_add_f64 v[72:73], v[108:109], v[104:105]
	v_add_f64 v[74:75], v[106:107], -v[110:111]
	v_add_f64 v[76:77], v[94:95], -v[82:83]
	v_add_f64 v[78:79], v[112:113], v[96:97]
	v_add_f64 v[80:81], v[82:83], v[94:95]
	v_add_f64 v[82:83], v[96:97], -v[112:113]
	v_add_f64 v[84:85], v[104:105], -v[108:109]
	v_add_f64 v[86:87], v[110:111], v[106:107]
	v_add_f64 v[88:89], v[88:89], -v[102:103]
	v_add_f64 v[90:91], v[98:99], v[92:93]
	; wave barrier
	ds_write_b128 v211, v[36:39]
	ds_write_b128 v211, v[44:47] offset:1008
	ds_write_b128 v211, v[48:51] offset:2016
	;; [unrolled: 1-line block ×13, first 2 shown]
	s_waitcnt lgkmcnt(0)
	; wave barrier
	s_waitcnt lgkmcnt(0)
	ds_read_b128 v[36:39], v211 offset:7056
	ds_read_b128 v[40:43], v211
	ds_read_b128 v[44:47], v211 offset:1008
	ds_read_b128 v[48:51], v211 offset:8064
	;; [unrolled: 1-line block ×8, first 2 shown]
	s_waitcnt lgkmcnt(9)
	v_mul_f64 v[92:93], v[126:127], v[38:39]
	v_mul_f64 v[94:95], v[126:127], v[36:37]
	s_waitcnt lgkmcnt(6)
	v_mul_f64 v[96:97], v[130:131], v[50:51]
	v_mul_f64 v[98:99], v[130:131], v[48:49]
	ds_read_b128 v[76:79], v211 offset:4032
	ds_read_b128 v[80:83], v211 offset:5040
	ds_read_b128 v[84:87], v211 offset:12096
	ds_read_b128 v[88:91], v211 offset:13104
	s_waitcnt lgkmcnt(5)
	v_mul_f64 v[100:101], v[146:147], v[70:71]
	v_mul_f64 v[102:103], v[146:147], v[68:69]
	s_mov_b32 s2, 0x5bb804a5
	v_fma_f64 v[36:37], v[124:125], v[36:37], v[92:93]
	v_fma_f64 v[38:39], v[124:125], v[38:39], -v[94:95]
	v_mul_f64 v[92:93], v[134:135], v[54:55]
	v_mul_f64 v[94:95], v[134:135], v[52:53]
	v_fma_f64 v[48:49], v[128:129], v[48:49], v[96:97]
	v_fma_f64 v[50:51], v[128:129], v[50:51], -v[98:99]
	v_mul_f64 v[96:97], v[138:139], v[66:67]
	v_mul_f64 v[98:99], v[138:139], v[64:65]
	s_waitcnt lgkmcnt(1)
	v_mul_f64 v[104:105], v[150:151], v[86:87]
	v_mul_f64 v[106:107], v[150:151], v[84:85]
	v_fma_f64 v[52:53], v[132:133], v[52:53], v[92:93]
	v_fma_f64 v[54:55], v[132:133], v[54:55], -v[94:95]
	s_waitcnt lgkmcnt(0)
	v_mul_f64 v[92:93], v[142:143], v[90:91]
	v_mul_f64 v[94:95], v[142:143], v[88:89]
	v_fma_f64 v[64:65], v[136:137], v[64:65], v[96:97]
	v_fma_f64 v[66:67], v[136:137], v[66:67], -v[98:99]
	v_fma_f64 v[68:69], v[144:145], v[68:69], v[100:101]
	v_fma_f64 v[70:71], v[144:145], v[70:71], -v[102:103]
	;; [unrolled: 2-line block ×3, first 2 shown]
	v_add_f64 v[36:37], v[40:41], -v[36:37]
	v_add_f64 v[38:39], v[42:43], -v[38:39]
	v_fma_f64 v[88:89], v[140:141], v[88:89], v[92:93]
	v_fma_f64 v[90:91], v[140:141], v[90:91], -v[94:95]
	v_add_f64 v[48:49], v[44:45], -v[48:49]
	v_add_f64 v[50:51], v[46:47], -v[50:51]
	;; [unrolled: 1-line block ×6, first 2 shown]
	v_fma_f64 v[40:41], v[40:41], 2.0, -v[36:37]
	v_fma_f64 v[42:43], v[42:43], 2.0, -v[38:39]
	v_add_f64 v[68:69], v[76:77], -v[68:69]
	v_add_f64 v[70:71], v[78:79], -v[70:71]
	;; [unrolled: 1-line block ×6, first 2 shown]
	v_fma_f64 v[44:45], v[44:45], 2.0, -v[48:49]
	v_fma_f64 v[46:47], v[46:47], 2.0, -v[50:51]
	;; [unrolled: 1-line block ×12, first 2 shown]
	ds_write_b128 v211, v[40:43]
	ds_write_b128 v211, v[36:39] offset:7056
	ds_write_b128 v211, v[44:47] offset:1008
	;; [unrolled: 1-line block ×13, first 2 shown]
	s_waitcnt lgkmcnt(0)
	; wave barrier
	s_waitcnt lgkmcnt(0)
	ds_read_b128 v[36:39], v211
	ds_read_b128 v[40:43], v211 offset:1568
	v_mad_u64_u32 v[44:45], s[0:1], s10, v210, 0
	s_mov_b32 s3, 0x3f529372
	s_waitcnt lgkmcnt(1)
	v_mul_f64 v[46:47], v[34:35], v[38:39]
	v_mul_f64 v[34:35], v[34:35], v[36:37]
	v_mad_u64_u32 v[48:49], s[0:1], s11, v210, v[45:46]
	v_mad_u64_u32 v[49:50], s[0:1], s8, v212, 0
	v_fma_f64 v[36:37], v[32:33], v[36:37], v[46:47]
	v_fma_f64 v[34:35], v[32:33], v[38:39], -v[34:35]
	v_mov_b32_e32 v32, v50
	v_mad_u64_u32 v[38:39], s[0:1], s9, v212, v[32:33]
	v_mov_b32_e32 v45, v48
	v_mov_b32_e32 v50, v38
	s_waitcnt lgkmcnt(0)
	v_mul_f64 v[38:39], v[26:27], v[42:43]
	v_mul_f64 v[26:27], v[26:27], v[40:41]
	;; [unrolled: 1-line block ×4, first 2 shown]
	v_lshlrev_b64 v[36:37], 4, v[44:45]
	v_mov_b32_e32 v44, s7
	v_add_co_u32_e64 v45, s[0:1], s6, v36
	v_fma_f64 v[38:39], v[24:25], v[40:41], v[38:39]
	v_fma_f64 v[40:41], v[24:25], v[42:43], -v[26:27]
	ds_read_b128 v[24:27], v211 offset:3136
	v_addc_co_u32_e64 v44, s[0:1], v44, v37, s[0:1]
	v_lshlrev_b64 v[36:37], 4, v[49:50]
	v_add_co_u32_e64 v42, s[0:1], v45, v36
	v_addc_co_u32_e64 v43, s[0:1], v44, v37, s[0:1]
	global_store_dwordx4 v[42:43], v[32:35], off
	s_mul_i32 s0, s9, 0x62
	v_mul_f64 v[32:33], v[38:39], s[2:3]
	ds_read_b128 v[36:39], v211 offset:4704
	v_mul_f64 v[34:35], v[40:41], s[2:3]
	s_waitcnt lgkmcnt(1)
	v_mul_f64 v[40:41], v[6:7], v[26:27]
	v_mul_f64 v[6:7], v[6:7], v[24:25]
	s_mul_hi_u32 s1, s8, 0x62
	s_add_i32 s1, s1, s0
	s_mul_i32 s0, s8, 0x62
	s_lshl_b64 s[4:5], s[0:1], 4
	v_mov_b32_e32 v44, s5
	v_add_co_u32_e64 v42, s[0:1], s4, v42
	v_fma_f64 v[24:25], v[4:5], v[24:25], v[40:41]
	v_fma_f64 v[6:7], v[4:5], v[26:27], -v[6:7]
	s_waitcnt lgkmcnt(0)
	v_mul_f64 v[40:41], v[30:31], v[38:39]
	v_mul_f64 v[30:31], v[30:31], v[36:37]
	v_addc_co_u32_e64 v43, s[0:1], v43, v44, s[0:1]
	global_store_dwordx4 v[42:43], v[32:35], off
	v_mul_f64 v[4:5], v[24:25], s[2:3]
	ds_read_b128 v[24:27], v211 offset:6272
	v_mul_f64 v[6:7], v[6:7], s[2:3]
	v_fma_f64 v[32:33], v[28:29], v[36:37], v[40:41]
	v_fma_f64 v[34:35], v[28:29], v[38:39], -v[30:31]
	ds_read_b128 v[28:31], v211 offset:7840
	s_waitcnt lgkmcnt(1)
	v_mul_f64 v[36:37], v[14:15], v[26:27]
	v_mul_f64 v[14:15], v[14:15], v[24:25]
	v_add_co_u32_e64 v38, s[0:1], s4, v42
	v_addc_co_u32_e64 v39, s[0:1], v43, v44, s[0:1]
	global_store_dwordx4 v[38:39], v[4:7], off
	v_fma_f64 v[24:25], v[12:13], v[24:25], v[36:37]
	v_mul_f64 v[4:5], v[32:33], s[2:3]
	v_mul_f64 v[6:7], v[34:35], s[2:3]
	v_fma_f64 v[14:15], v[12:13], v[26:27], -v[14:15]
	s_waitcnt lgkmcnt(0)
	v_mul_f64 v[26:27], v[10:11], v[30:31]
	v_mul_f64 v[32:33], v[10:11], v[28:29]
	ds_read_b128 v[10:13], v211 offset:9408
	v_add_co_u32_e64 v34, s[0:1], s4, v38
	v_addc_co_u32_e64 v35, s[0:1], v39, v44, s[0:1]
	global_store_dwordx4 v[34:35], v[4:7], off
	v_add_co_u32_e64 v34, s[0:1], s4, v34
	v_mul_f64 v[4:5], v[24:25], s[2:3]
	v_mul_f64 v[6:7], v[14:15], s[2:3]
	v_fma_f64 v[14:15], v[8:9], v[28:29], v[26:27]
	ds_read_b128 v[24:27], v211 offset:10976
	v_fma_f64 v[8:9], v[8:9], v[30:31], -v[32:33]
	s_waitcnt lgkmcnt(1)
	v_mul_f64 v[32:33], v[18:19], v[12:13]
	v_mul_f64 v[18:19], v[18:19], v[10:11]
	ds_read_b128 v[28:31], v211 offset:12544
	v_addc_co_u32_e64 v35, s[0:1], v35, v44, s[0:1]
	global_store_dwordx4 v[34:35], v[4:7], off
	s_nop 0
	v_mul_f64 v[4:5], v[14:15], s[2:3]
	v_mul_f64 v[6:7], v[8:9], s[2:3]
	v_fma_f64 v[8:9], v[16:17], v[10:11], v[32:33]
	v_fma_f64 v[10:11], v[16:17], v[12:13], -v[18:19]
	s_waitcnt lgkmcnt(1)
	v_mul_f64 v[12:13], v[2:3], v[26:27]
	v_mul_f64 v[14:15], v[2:3], v[24:25]
	s_waitcnt lgkmcnt(0)
	v_mul_f64 v[16:17], v[22:23], v[30:31]
	v_mul_f64 v[18:19], v[22:23], v[28:29]
	v_add_co_u32_e64 v22, s[0:1], s4, v34
	v_addc_co_u32_e64 v23, s[0:1], v35, v44, s[0:1]
	global_store_dwordx4 v[22:23], v[4:7], off
	v_mul_f64 v[2:3], v[8:9], s[2:3]
	v_fma_f64 v[6:7], v[0:1], v[24:25], v[12:13]
	v_fma_f64 v[0:1], v[0:1], v[26:27], -v[14:15]
	v_mul_f64 v[4:5], v[10:11], s[2:3]
	v_fma_f64 v[10:11], v[20:21], v[28:29], v[16:17]
	v_fma_f64 v[12:13], v[20:21], v[30:31], -v[18:19]
	v_add_co_u32_e64 v14, s[0:1], s4, v22
	v_addc_co_u32_e64 v15, s[0:1], v23, v44, s[0:1]
	v_mul_f64 v[6:7], v[6:7], s[2:3]
	v_mul_f64 v[8:9], v[0:1], s[2:3]
	global_store_dwordx4 v[14:15], v[2:5], off
	v_add_co_u32_e64 v0, s[0:1], s4, v14
	v_mul_f64 v[2:3], v[10:11], s[2:3]
	v_mul_f64 v[4:5], v[12:13], s[2:3]
	v_addc_co_u32_e64 v1, s[0:1], v15, v44, s[0:1]
	global_store_dwordx4 v[0:1], v[6:9], off
	v_add_co_u32_e64 v0, s[0:1], s4, v0
	v_addc_co_u32_e64 v1, s[0:1], v1, v44, s[0:1]
	global_store_dwordx4 v[0:1], v[2:5], off
	s_and_b64 exec, exec, vcc
	s_cbranch_execz .LBB0_15
; %bb.14:
	s_movk_i32 s0, 0x1000
	v_add_co_u32_e32 v30, vcc, s0, v208
	global_load_dwordx4 v[2:5], v[208:209], off offset:1008
	global_load_dwordx4 v[6:9], v[208:209], off offset:2576
	v_addc_co_u32_e32 v31, vcc, 0, v209, vcc
	global_load_dwordx4 v[10:13], v[30:31], off offset:48
	ds_read_b128 v[14:17], v211 offset:1008
	ds_read_b128 v[18:21], v211 offset:2576
	;; [unrolled: 1-line block ×4, first 2 shown]
	v_mov_b32_e32 v38, 0xffffd2f0
	v_mad_u64_u32 v[38:39], s[0:1], s8, v38, v[0:1]
	s_mul_i32 s6, s9, 0xffffd2f0
	s_sub_i32 s0, s6, s8
	v_mov_b32_e32 v40, s5
	v_add_u32_e32 v39, s0, v39
	s_movk_i32 s0, 0x2000
	s_waitcnt vmcnt(2) lgkmcnt(3)
	v_mul_f64 v[32:33], v[16:17], v[4:5]
	v_mul_f64 v[4:5], v[14:15], v[4:5]
	s_waitcnt vmcnt(1) lgkmcnt(2)
	v_mul_f64 v[34:35], v[20:21], v[8:9]
	v_mul_f64 v[8:9], v[18:19], v[8:9]
	s_waitcnt vmcnt(0) lgkmcnt(1)
	v_mul_f64 v[36:37], v[24:25], v[12:13]
	v_mul_f64 v[12:13], v[22:23], v[12:13]
	v_fma_f64 v[0:1], v[14:15], v[2:3], v[32:33]
	v_fma_f64 v[2:3], v[2:3], v[16:17], -v[4:5]
	v_fma_f64 v[4:5], v[18:19], v[6:7], v[34:35]
	v_fma_f64 v[6:7], v[6:7], v[20:21], -v[8:9]
	;; [unrolled: 2-line block ×3, first 2 shown]
	v_add_co_u32_e32 v12, vcc, s4, v38
	v_mul_f64 v[0:1], v[0:1], s[2:3]
	v_mul_f64 v[2:3], v[2:3], s[2:3]
	;; [unrolled: 1-line block ×6, first 2 shown]
	v_addc_co_u32_e32 v13, vcc, v39, v40, vcc
	v_add_co_u32_e32 v14, vcc, s4, v12
	v_addc_co_u32_e32 v15, vcc, v13, v40, vcc
	global_store_dwordx4 v[38:39], v[0:3], off
	global_store_dwordx4 v[12:13], v[4:7], off
	;; [unrolled: 1-line block ×3, first 2 shown]
	global_load_dwordx4 v[0:3], v[30:31], off offset:1616
	v_add_co_u32_e32 v12, vcc, s4, v14
	v_addc_co_u32_e32 v13, vcc, v15, v40, vcc
	s_waitcnt vmcnt(0) lgkmcnt(0)
	v_mul_f64 v[4:5], v[28:29], v[2:3]
	v_mul_f64 v[2:3], v[26:27], v[2:3]
	v_fma_f64 v[4:5], v[26:27], v[0:1], v[4:5]
	v_fma_f64 v[2:3], v[0:1], v[28:29], -v[2:3]
	v_mul_f64 v[0:1], v[4:5], s[2:3]
	v_mul_f64 v[2:3], v[2:3], s[2:3]
	global_store_dwordx4 v[12:13], v[0:3], off
	global_load_dwordx4 v[0:3], v[30:31], off offset:3184
	ds_read_b128 v[4:7], v211 offset:7280
	ds_read_b128 v[8:11], v211 offset:8848
	s_waitcnt vmcnt(0) lgkmcnt(1)
	v_mul_f64 v[14:15], v[6:7], v[2:3]
	v_mul_f64 v[2:3], v[4:5], v[2:3]
	v_fma_f64 v[4:5], v[4:5], v[0:1], v[14:15]
	v_fma_f64 v[2:3], v[0:1], v[6:7], -v[2:3]
	v_add_co_u32_e32 v14, vcc, s0, v208
	v_addc_co_u32_e32 v15, vcc, 0, v209, vcc
	s_movk_i32 s0, 0x3000
	v_mul_f64 v[0:1], v[4:5], s[2:3]
	v_mul_f64 v[2:3], v[2:3], s[2:3]
	v_add_co_u32_e32 v4, vcc, s4, v12
	v_addc_co_u32_e32 v5, vcc, v13, v40, vcc
	v_add_co_u32_e32 v12, vcc, s4, v4
	v_addc_co_u32_e32 v13, vcc, v5, v40, vcc
	global_store_dwordx4 v[4:5], v[0:3], off
	global_load_dwordx4 v[0:3], v[14:15], off offset:656
	s_waitcnt vmcnt(0) lgkmcnt(0)
	v_mul_f64 v[6:7], v[10:11], v[2:3]
	v_mul_f64 v[2:3], v[8:9], v[2:3]
	v_fma_f64 v[6:7], v[8:9], v[0:1], v[6:7]
	v_fma_f64 v[2:3], v[0:1], v[10:11], -v[2:3]
	v_mul_f64 v[0:1], v[6:7], s[2:3]
	v_mul_f64 v[2:3], v[2:3], s[2:3]
	global_store_dwordx4 v[12:13], v[0:3], off
	global_load_dwordx4 v[0:3], v[14:15], off offset:2224
	ds_read_b128 v[4:7], v211 offset:10416
	ds_read_b128 v[8:11], v211 offset:11984
	s_waitcnt vmcnt(0) lgkmcnt(1)
	v_mul_f64 v[16:17], v[6:7], v[2:3]
	v_mul_f64 v[2:3], v[4:5], v[2:3]
	v_fma_f64 v[4:5], v[4:5], v[0:1], v[16:17]
	v_fma_f64 v[2:3], v[0:1], v[6:7], -v[2:3]
	v_mul_f64 v[0:1], v[4:5], s[2:3]
	v_mul_f64 v[2:3], v[2:3], s[2:3]
	v_add_co_u32_e32 v4, vcc, s4, v12
	v_addc_co_u32_e32 v5, vcc, v13, v40, vcc
	global_store_dwordx4 v[4:5], v[0:3], off
	global_load_dwordx4 v[0:3], v[14:15], off offset:3792
	s_waitcnt vmcnt(0) lgkmcnt(0)
	v_mul_f64 v[6:7], v[10:11], v[2:3]
	v_mul_f64 v[2:3], v[8:9], v[2:3]
	v_fma_f64 v[6:7], v[8:9], v[0:1], v[6:7]
	v_fma_f64 v[2:3], v[0:1], v[10:11], -v[2:3]
	v_mul_f64 v[0:1], v[6:7], s[2:3]
	v_mul_f64 v[2:3], v[2:3], s[2:3]
	v_add_co_u32_e32 v6, vcc, s0, v208
	v_addc_co_u32_e32 v7, vcc, 0, v209, vcc
	v_add_co_u32_e32 v8, vcc, s4, v4
	v_addc_co_u32_e32 v9, vcc, v5, v40, vcc
	global_store_dwordx4 v[8:9], v[0:3], off
	global_load_dwordx4 v[0:3], v[6:7], off offset:1264
	ds_read_b128 v[4:7], v211 offset:13552
	s_waitcnt vmcnt(0) lgkmcnt(0)
	v_mul_f64 v[10:11], v[6:7], v[2:3]
	v_mul_f64 v[2:3], v[4:5], v[2:3]
	v_fma_f64 v[4:5], v[4:5], v[0:1], v[10:11]
	v_fma_f64 v[2:3], v[0:1], v[6:7], -v[2:3]
	v_mul_f64 v[0:1], v[4:5], s[2:3]
	v_mul_f64 v[2:3], v[2:3], s[2:3]
	v_add_co_u32_e32 v4, vcc, s4, v8
	v_addc_co_u32_e32 v5, vcc, v9, v40, vcc
	global_store_dwordx4 v[4:5], v[0:3], off
.LBB0_15:
	s_endpgm
	.section	.rodata,"a",@progbits
	.p2align	6, 0x0
	.amdhsa_kernel bluestein_single_fwd_len882_dim1_dp_op_CI_CI
		.amdhsa_group_segment_fixed_size 14112
		.amdhsa_private_segment_fixed_size 0
		.amdhsa_kernarg_size 104
		.amdhsa_user_sgpr_count 6
		.amdhsa_user_sgpr_private_segment_buffer 1
		.amdhsa_user_sgpr_dispatch_ptr 0
		.amdhsa_user_sgpr_queue_ptr 0
		.amdhsa_user_sgpr_kernarg_segment_ptr 1
		.amdhsa_user_sgpr_dispatch_id 0
		.amdhsa_user_sgpr_flat_scratch_init 0
		.amdhsa_user_sgpr_private_segment_size 0
		.amdhsa_uses_dynamic_stack 0
		.amdhsa_system_sgpr_private_segment_wavefront_offset 0
		.amdhsa_system_sgpr_workgroup_id_x 1
		.amdhsa_system_sgpr_workgroup_id_y 0
		.amdhsa_system_sgpr_workgroup_id_z 0
		.amdhsa_system_sgpr_workgroup_info 0
		.amdhsa_system_vgpr_workitem_id 0
		.amdhsa_next_free_vgpr 253
		.amdhsa_next_free_sgpr 32
		.amdhsa_reserve_vcc 1
		.amdhsa_reserve_flat_scratch 0
		.amdhsa_float_round_mode_32 0
		.amdhsa_float_round_mode_16_64 0
		.amdhsa_float_denorm_mode_32 3
		.amdhsa_float_denorm_mode_16_64 3
		.amdhsa_dx10_clamp 1
		.amdhsa_ieee_mode 1
		.amdhsa_fp16_overflow 0
		.amdhsa_exception_fp_ieee_invalid_op 0
		.amdhsa_exception_fp_denorm_src 0
		.amdhsa_exception_fp_ieee_div_zero 0
		.amdhsa_exception_fp_ieee_overflow 0
		.amdhsa_exception_fp_ieee_underflow 0
		.amdhsa_exception_fp_ieee_inexact 0
		.amdhsa_exception_int_div_zero 0
	.end_amdhsa_kernel
	.text
.Lfunc_end0:
	.size	bluestein_single_fwd_len882_dim1_dp_op_CI_CI, .Lfunc_end0-bluestein_single_fwd_len882_dim1_dp_op_CI_CI
                                        ; -- End function
	.section	.AMDGPU.csdata,"",@progbits
; Kernel info:
; codeLenInByte = 18660
; NumSgprs: 36
; NumVgprs: 253
; ScratchSize: 0
; MemoryBound: 0
; FloatMode: 240
; IeeeMode: 1
; LDSByteSize: 14112 bytes/workgroup (compile time only)
; SGPRBlocks: 4
; VGPRBlocks: 63
; NumSGPRsForWavesPerEU: 36
; NumVGPRsForWavesPerEU: 253
; Occupancy: 1
; WaveLimiterHint : 1
; COMPUTE_PGM_RSRC2:SCRATCH_EN: 0
; COMPUTE_PGM_RSRC2:USER_SGPR: 6
; COMPUTE_PGM_RSRC2:TRAP_HANDLER: 0
; COMPUTE_PGM_RSRC2:TGID_X_EN: 1
; COMPUTE_PGM_RSRC2:TGID_Y_EN: 0
; COMPUTE_PGM_RSRC2:TGID_Z_EN: 0
; COMPUTE_PGM_RSRC2:TIDIG_COMP_CNT: 0
	.type	__hip_cuid_81f3b4f83597b76f,@object ; @__hip_cuid_81f3b4f83597b76f
	.section	.bss,"aw",@nobits
	.globl	__hip_cuid_81f3b4f83597b76f
__hip_cuid_81f3b4f83597b76f:
	.byte	0                               ; 0x0
	.size	__hip_cuid_81f3b4f83597b76f, 1

	.ident	"AMD clang version 19.0.0git (https://github.com/RadeonOpenCompute/llvm-project roc-6.4.0 25133 c7fe45cf4b819c5991fe208aaa96edf142730f1d)"
	.section	".note.GNU-stack","",@progbits
	.addrsig
	.addrsig_sym __hip_cuid_81f3b4f83597b76f
	.amdgpu_metadata
---
amdhsa.kernels:
  - .args:
      - .actual_access:  read_only
        .address_space:  global
        .offset:         0
        .size:           8
        .value_kind:     global_buffer
      - .actual_access:  read_only
        .address_space:  global
        .offset:         8
        .size:           8
        .value_kind:     global_buffer
      - .actual_access:  read_only
        .address_space:  global
        .offset:         16
        .size:           8
        .value_kind:     global_buffer
      - .actual_access:  read_only
        .address_space:  global
        .offset:         24
        .size:           8
        .value_kind:     global_buffer
      - .actual_access:  read_only
        .address_space:  global
        .offset:         32
        .size:           8
        .value_kind:     global_buffer
      - .offset:         40
        .size:           8
        .value_kind:     by_value
      - .address_space:  global
        .offset:         48
        .size:           8
        .value_kind:     global_buffer
      - .address_space:  global
        .offset:         56
        .size:           8
        .value_kind:     global_buffer
      - .address_space:  global
        .offset:         64
        .size:           8
        .value_kind:     global_buffer
      - .address_space:  global
        .offset:         72
        .size:           8
        .value_kind:     global_buffer
      - .offset:         80
        .size:           4
        .value_kind:     by_value
      - .address_space:  global
        .offset:         88
        .size:           8
        .value_kind:     global_buffer
      - .address_space:  global
        .offset:         96
        .size:           8
        .value_kind:     global_buffer
    .group_segment_fixed_size: 14112
    .kernarg_segment_align: 8
    .kernarg_segment_size: 104
    .language:       OpenCL C
    .language_version:
      - 2
      - 0
    .max_flat_workgroup_size: 63
    .name:           bluestein_single_fwd_len882_dim1_dp_op_CI_CI
    .private_segment_fixed_size: 0
    .sgpr_count:     36
    .sgpr_spill_count: 0
    .symbol:         bluestein_single_fwd_len882_dim1_dp_op_CI_CI.kd
    .uniform_work_group_size: 1
    .uses_dynamic_stack: false
    .vgpr_count:     253
    .vgpr_spill_count: 0
    .wavefront_size: 64
amdhsa.target:   amdgcn-amd-amdhsa--gfx906
amdhsa.version:
  - 1
  - 2
...

	.end_amdgpu_metadata
